;; amdgpu-corpus repo=ROCm/aiter kind=harvested arch=n/a opt=n/a

/root/src/amdgpu-assembly/repos/ROCm__aiter/hsa/gfx950/fmoe_2stages/fmoe_stage1_bf16_pertokenFp8_g1u1_32x64_4tg_pf3.co:	file format elf64-amdgpu

Disassembly of section .text:

0000000000002a00 <_ZN5aiter47fmoe_stage1_bf16_pertokenFp8_g1u1_32x64_4tg_pf3E>:
	s_and_b32 s1, s1, 0xffff                                   // 000000002A00: 8601FF01 0000FFFF
	s_load_dwordx2 s[8:9], s[0:1], 0x0                         // 000000002A08: C0060200 00000000
	s_load_dwordx2 s[20:21], s[0:1], 0x10                      // 000000002A10: C0060500 00000010
	s_load_dwordx2 s[24:25], s[0:1], 0x20                      // 000000002A18: C0060600 00000020
	s_load_dwordx2 s[48:49], s[0:1], 0x30                      // 000000002A20: C0060C00 00000030
	s_load_dwordx2 s[28:29], s[0:1], 0x40                      // 000000002A28: C0060700 00000040
	s_load_dwordx2 s[32:33], s[0:1], 0x50                      // 000000002A30: C0060800 00000050
	s_load_dwordx2 s[36:37], s[0:1], 0x60                      // 000000002A38: C0060900 00000060
	s_load_dwordx2 s[12:13], s[0:1], 0x70                      // 000000002A40: C0060300 00000070
	s_load_dwordx2 s[44:45], s[0:1], 0x80                      // 000000002A48: C0060B00 00000080
	s_mov_b32 s89, 0                                           // 000000002A50: BED90080
	s_load_dword s64, s[0:1], 0x90                             // 000000002A54: C0021000 00000090
	s_load_dword s65, s[0:1], 0xa0                             // 000000002A5C: C0021040 000000A0
	s_load_dword s66, s[0:1], 0xb0                             // 000000002A64: C0021080 000000B0
	s_load_dword s67, s[0:1], 0xc0                             // 000000002A6C: C00210C0 000000C0
	s_load_dword s68, s[0:1], 0xd0                             // 000000002A74: C0021100 000000D0
	s_load_dword s69, s[0:1], 0xe0                             // 000000002A7C: C0021140 000000E0
	s_load_dword s71, s[0:1], 0xf0                             // 000000002A84: C00211C0 000000F0
	s_load_dword s72, s[0:1], 0x100                            // 000000002A8C: C0021200 00000100
	s_load_dword s74, s[0:1], 0x110                            // 000000002A94: C0021280 00000110
	s_load_dword s76, s[0:1], 0x120                            // 000000002A9C: C0021300 00000120
	s_load_dword s56, s[0:1], 0x130                            // 000000002AA4: C0020E00 00000130
	s_load_dword s88, s[0:1], 0x140                            // 000000002AAC: C0021600 00000140
	s_load_dword s89, s[0:1], 0x150                            // 000000002AB4: C0021640 00000150
	v_lshrrev_b32_e32 v1, 10, v0                               // 000000002ABC: 2002008A
	v_lshrrev_b32_e32 v2, 10, v1                               // 000000002AC0: 2004028A
	v_and_b32_e32 v2, 0x3ff, v2                                // 000000002AC4: 260404FF 000003FF
	v_and_b32_e32 v1, 0x3ff, v1                                // 000000002ACC: 260202FF 000003FF
	v_and_b32_e32 v0, 0x3ff, v0                                // 000000002AD4: 260000FF 000003FF
	v_lshrrev_b32_e32 v3, 6, v0                                // 000000002ADC: 20060086
	v_and_b32_e32 v0, 63, v0                                   // 000000002AE0: 260000BF
	s_mov_b32 s2, s2                                           // 000000002AE4: BE820002
	s_mov_b32 s3, s3                                           // 000000002AE8: BE830003
	s_mov_b32 s4, s4                                           // 000000002AEC: BE840004
	v_readfirstlane_b32 s7, v3                                 // 000000002AF0: 7E0E0503
	s_waitcnt lgkmcnt(0)                                       // 000000002AF4: BF8CC07F
	s_and_b32 s49, s49, 0xffff                                 // 000000002AF8: 8631FF31 0000FFFF
	s_load_dword s48, s[48:49], 0x0                            // 000000002B00: C0020C18 00000000
	s_and_b32 s45, s45, 0xffff                                 // 000000002B08: 862DFF2D 0000FFFF
	s_and_b32 s9, s9, 0xffff                                   // 000000002B10: 8609FF09 0000FFFF
	s_mul_i32 s60, s66, s68                                    // 000000002B18: 923C4442
	s_mul_i32 s61, s66, 4                                      // 000000002B1C: 923D8442
	s_mov_b32 s22, s60                                         // 000000002B20: BE96003C
	s_mov_b32 s26, -16                                         // 000000002B24: BE9A00D0
	s_mov_b32 s30, s61                                         // 000000002B28: BE9E003D
	s_mov_b32 s14, 0x80                                        // 000000002B2C: BE8E00FF 00000080
	s_mov_b32 s38, -16                                         // 000000002B34: BEA600D0
	s_mov_b32 s10, -16                                         // 000000002B38: BE8A00D0
	s_mov_b32 s34, 0x100                                       // 000000002B3C: BEA200FF 00000100
	s_mov_b32 s23, 0x20000                                     // 000000002B44: BE9700FF 00020000
	s_mov_b32 s27, 0x20000                                     // 000000002B4C: BE9B00FF 00020000
	s_mov_b32 s31, 0x20000                                     // 000000002B54: BE9F00FF 00020000
	s_mov_b32 s35, 0x20000                                     // 000000002B5C: BEA300FF 00020000
	s_mov_b32 s15, 0x20000                                     // 000000002B64: BE8F00FF 00020000
	s_mov_b32 s39, 0x20000                                     // 000000002B6C: BEA700FF 00020000
	s_mov_b32 s11, 0x20000                                     // 000000002B74: BE8B00FF 00020000
	s_and_b32 s21, s21, 0xffff                                 // 000000002B7C: 8615FF15 0000FFFF
	s_and_b32 s25, s25, 0xffff                                 // 000000002B84: 8619FF19 0000FFFF
	s_and_b32 s29, s29, 0xffff                                 // 000000002B8C: 861DFF1D 0000FFFF
	s_and_b32 s33, s33, 0xffff                                 // 000000002B94: 8621FF21 0000FFFF
	s_and_b32 s13, s13, 0xffff                                 // 000000002B9C: 860DFF0D 0000FFFF
	s_and_b32 s37, s37, 0xffff                                 // 000000002BA4: 8625FF25 0000FFFF
	s_or_b32 s21, s21, 0x40000                                 // 000000002BAC: 8715FF15 00040000
	s_or_b32 s25, s25, 0x40000                                 // 000000002BB4: 8719FF19 00040000
	s_or_b32 s29, s29, 0x40000                                 // 000000002BBC: 871DFF1D 00040000
	s_or_b32 s33, s33, 0x40000                                 // 000000002BC4: 8721FF21 00040000
	s_or_b32 s13, s13, 0x40000                                 // 000000002BCC: 870DFF0D 00040000
	s_or_b32 s37, s37, 0x40000                                 // 000000002BD4: 8725FF25 00040000
	v_accvgpr_write_b32 a55, 0                                 // 000000002BDC: D3D94037 18000080
	v_mov_b32_e32 v59, 0                                       // 000000002BE4: 7E760280
	s_waitcnt lgkmcnt(0)                                       // 000000002BE8: BF8CC07F
	s_mul_i32 s60, s3, 32                                      // 000000002BEC: 923CA003
	s_cmp_lt_i32 s60, s48                                      // 000000002BF0: BF04303C
	s_cbranch_scc0 label_0D09                                  // 000000002BF4: BF840C88
	s_mov_b32 s80, 0                                           // 000000002BF8: BED00080
	s_lshr_b32 s81, s64, s88                                   // 000000002BFC: 8F515840
	s_mul_i32 s60, s3, 4                                       // 000000002C00: 923C8403
	s_add_u32 s44, s60, s44                                    // 000000002C04: 802C2C3C
	s_addc_u32 s45, 0, s45                                     // 000000002C08: 822D2D80
	s_load_dword s5, s[44:45], 0x0                             // 000000002C0C: C0020156 00000000
	s_mul_i32 s60, s3, 32                                      // 000000002C14: 923CA003
	s_mul_i32 s60, 4, s60                                      // 000000002C18: 923C3C84
	s_add_u32 s12, s60, s12                                    // 000000002C1C: 800C0C3C
	s_addc_u32 s13, 0, s13                                     // 000000002C20: 820D0D80
	v_and_b32_e32 v4, 15, v0                                   // 000000002C24: 2608008F
	v_lshlrev_b32_e32 v4, 2, v4                                // 000000002C28: 24080882
	buffer_load_dword v30, v4, s[12:15], 0 offen               // 000000002C2C: E0501000 80031E04
	v_add_u32_e32 v4, 64, v4                                   // 000000002C34: 680808C0
	buffer_load_dword v31, v4, s[12:15], 0 offen               // 000000002C38: E0501000 80031F04
	v_add_u32_e32 v4, 64, v4                                   // 000000002C40: 680808C0
	s_mul_i32 s60, 4, s7                                       // 000000002C44: 923C0784
	v_lshlrev_b32_e32 v4, 4, v0                                // 000000002C48: 24080084
	v_add_u32_e32 v4, s60, v4                                  // 000000002C4C: 6808083C
	buffer_load_dword v3, v4, s[12:15], 0 offen                // 000000002C50: E0501000 80030304
	v_mov_b32_e32 v44, 0                                       // 000000002C58: 7E580280
	v_mov_b32_e32 v52, 0                                       // 000000002C5C: 7E680280
	v_mov_b32_e32 v45, 0                                       // 000000002C60: 7E5A0280
	v_mov_b32_e32 v53, 0                                       // 000000002C64: 7E6A0280
	v_mov_b32_e32 v46, 0                                       // 000000002C68: 7E5C0280
	v_mov_b32_e32 v54, 0                                       // 000000002C6C: 7E6C0280
	v_mov_b32_e32 v47, 0                                       // 000000002C70: 7E5E0280
	v_mov_b32_e32 v55, 0                                       // 000000002C74: 7E6E0280
	v_mov_b32_e32 v48, 0                                       // 000000002C78: 7E600280
	v_mov_b32_e32 v56, 0                                       // 000000002C7C: 7E700280
	v_mov_b32_e32 v49, 0                                       // 000000002C80: 7E620280
	v_mov_b32_e32 v57, 0                                       // 000000002C84: 7E720280
	v_mov_b32_e32 v50, 0                                       // 000000002C88: 7E640280
	v_mov_b32_e32 v58, 0                                       // 000000002C8C: 7E740280
	v_mov_b32_e32 v51, 0                                       // 000000002C90: 7E660280
	v_mov_b32_e32 v59, 0                                       // 000000002C94: 7E760280
	s_mul_i32 s60, s2, 0x80                                    // 000000002C98: 923CFF02 00000080
	s_cmp_eq_u32 s88, 0                                        // 000000002CA0: BF068058
	s_cselect_b32 s61, 1, 2                                    // 000000002CA4: 853D8281
	s_mul_i32 s60, s60, s61                                    // 000000002CA8: 923C3D3C
	s_mov_b32 s90, s8                                          // 000000002CAC: BEDA0008
	s_mov_b32 s91, s9                                          // 000000002CB0: BEDB0009
	s_add_u32 s8, s60, s8                                      // 000000002CB4: 8008083C
	s_addc_u32 s9, 0, s9                                       // 000000002CB8: 82090980
	v_lshrrev_b32_e32 v4, 4, v0                                // 000000002CBC: 20080084
	v_mul_lo_u32 v20, 34, v4                                   // 000000002CC0: D2850014 000208A2
	v_and_b32_e32 v4, 15, v0                                   // 000000002CC8: 2608008F
	v_mul_lo_u32 v5, 2, v4                                     // 000000002CCC: D2850005 00020882
	v_add_u32_e32 v20, v5, v20                                 // 000000002CD4: 68282905
	s_mul_i32 s60, s7, 0x88                                    // 000000002CD8: 923CFF07 00000088
	v_add_u32_e32 v20, s60, v20                                // 000000002CE0: 6828283C
	v_lshlrev_b32_e32 v20, 2, v20                              // 000000002CE4: 24282882
	v_and_b32_e32 v4, 31, v0                                   // 000000002CE8: 2608009F
	v_lshrrev_b32_e32 v4, 1, v4                                // 000000002CEC: 20080881
	v_mul_lo_u32 v21, 34, v4                                   // 000000002CF0: D2850015 000208A2
	v_lshrrev_b32_e32 v4, 5, v0                                // 000000002CF8: 20080085
	v_mul_lo_u32 v4, 8, v4                                     // 000000002CFC: D2850004 00020888
	v_add_u32_e32 v21, v21, v4                                 // 000000002D04: 682A0915
	v_and_b32_e32 v5, 1, v0                                    // 000000002D08: 260A0081
	v_add_u32_e32 v21, v5, v21                                 // 000000002D0C: 682A2B05
	s_mul_i32 s60, s7, 2                                       // 000000002D10: 923C8207
	v_add_u32_e32 v21, s60, v21                                // 000000002D14: 682A2A3C
	v_lshlrev_b32_e32 v21, 2, v21                              // 000000002D18: 242A2A82
	s_mul_i32 s60, s7, 0x420                                   // 000000002D1C: 923CFF07 00000420
	s_add_u32 s48, 0, s60                                      // 000000002D24: 80303C80
	s_add_u32 s49, 0x1080, s48                                 // 000000002D28: 803130FF 00001080
	s_add_u32 s50, 0x1080, s49                                 // 000000002D30: 803231FF 00001080
	v_lshrrev_b32_e32 v4, 4, v0                                // 000000002D38: 20080084
	v_lshlrev_b32_e32 v5, 2, v4                                // 000000002D3C: 240A0882
	v_and_b32_e32 v4, 15, v0                                   // 000000002D40: 2608008F
	v_lshrrev_b32_e32 v6, 2, v4                                // 000000002D44: 200C0882
	v_lshlrev_b32_e32 v6, 5, v6                                // 000000002D48: 240C0C85
	v_add_u32_e32 v5, v6, v5                                   // 000000002D4C: 680A0B06
	v_and_b32_e32 v4, 3, v0                                    // 000000002D50: 26080083
	v_mul_u32_u24_e32 v6, 0x108, v4                            // 000000002D54: 100C08FF 00000108
	v_add_u32_e32 v5, v6, v5                                   // 000000002D5C: 680A0B06
	v_lshlrev_b32_e32 v2, 2, v5                                // 000000002D60: 24040A82
	s_waitcnt lgkmcnt(0)                                       // 000000002D64: BF8CC07F
	s_mul_i32 s60, s2, 64                                      // 000000002D68: 923CC002
	s_mul_i32 s60, s60, s69                                    // 000000002D6C: 923C453C
	s_mul_i32 s61, s5, s72                                     // 000000002D70: 923D4805
	s_add_u32 s60, s61, s60                                    // 000000002D74: 803C3C3D
	s_add_u32 s24, s60, s24                                    // 000000002D78: 8018183C
	s_addc_u32 s25, 0, s25                                     // 000000002D7C: 82191980
	s_lshr_b32 s60, s64, s88                                   // 000000002D80: 8F3C5840
	s_mul_i32 s60, s4, s60                                     // 000000002D84: 923C3C04
	s_lshr_b32 s60, s60, 7                                     // 000000002D88: 8F3C873C
	s_mul_i32 s60, s60, 0x800                                  // 000000002D8C: 923CFF3C 00000800
	s_add_u32 s24, s60, s24                                    // 000000002D94: 8018183C
	s_addc_u32 s25, 0, s25                                     // 000000002D98: 82191980
	s_lshr_b32 s60, s69, s88                                   // 000000002D9C: 8F3C5845
	s_mul_i32 s60, s4, s60                                     // 000000002DA0: 923C3C04
	s_add_u32 s20, s60, s20                                    // 000000002DA4: 8014143C
	s_addc_u32 s21, 0, s21                                     // 000000002DA8: 82151580
	s_mul_i32 s60, s7, 16                                      // 000000002DAC: 923C9007
	s_mul_i32 s60, s60, s69                                    // 000000002DB0: 923C453C
	v_lshlrev_b32_e32 v42, 4, v0                               // 000000002DB4: 24540084
	v_add_u32_e32 v42, s60, v42                                // 000000002DB8: 6854543C
	s_mul_i32 s60, 64, s69                                     // 000000002DBC: 923C45C0
	s_mov_b32 s84, s24                                         // 000000002DC0: BED40018
	s_mov_b32 s85, s25                                         // 000000002DC4: BED50019
	s_mov_b32 s86, s26                                         // 000000002DC8: BED6001A
	s_mov_b32 s87, s27                                         // 000000002DCC: BED7001B
	s_mul_i32 s60, s69, s65                                    // 000000002DD0: 923C4145
	s_add_u32 s84, s60, s84                                    // 000000002DD4: 8054543C
	s_addc_u32 s85, 0, s85                                     // 000000002DD8: 82555580
	v_lshrrev_b32_e32 v4, 4, v0                                // 000000002DDC: 20080084
	v_lshlrev_b32_e32 v5, 2, v4                                // 000000002DE0: 240A0882
	v_and_b32_e32 v4, 15, v0                                   // 000000002DE4: 2608008F
	v_lshrrev_b32_e32 v6, 2, v4                                // 000000002DE8: 200C0882
	v_lshlrev_b32_e32 v6, 6, v6                                // 000000002DEC: 240C0C86
	v_add_u32_e32 v5, v6, v5                                   // 000000002DF0: 680A0B06
	v_and_b32_e32 v4, 3, v0                                    // 000000002DF4: 26080083
	v_add_u32_e32 v5, v4, v5                                   // 000000002DF8: 680A0B04
	v_lshlrev_b32_e32 v22, 2, v5                               // 000000002DFC: 242C0A82
	s_mul_i32 s60, s7, 16                                      // 000000002E00: 923C9007
	s_mul_i32 s60, s60, 4                                      // 000000002E04: 923C843C
	v_add_u32_e32 v22, s60, v22                                // 000000002E08: 682C2C3C
	s_mul_i32 s60, s2, 64                                      // 000000002E0C: 923CC002
	s_mul_i32 s60, s60, 4                                      // 000000002E10: 923C843C
	s_mul_i32 s61, s5, s74                                     // 000000002E14: 923D4A05
	s_add_u32 s61, s61, s60                                    // 000000002E18: 803D3C3D
	s_add_u32 s32, s61, s32                                    // 000000002E1C: 8020203D
	s_addc_u32 s33, 0, s33                                     // 000000002E20: 82212180
	s_mov_b32 s57, 0x80                                        // 000000002E24: BEB900FF 00000080
	s_mov_b32 s58, 0x800                                       // 000000002E2C: BEBA00FF 00000800
	s_mov_b32 s83, s58                                         // 000000002E34: BED3003A
	s_mov_b32 s52, 0x7060302                                   // 000000002E38: BEB400FF 07060302
	s_mov_b32 s53, 0x400                                       // 000000002E40: BEB500FF 00000400
	s_mov_b32 s54, 0x40100                                     // 000000002E48: BEB600FF 00040100
	s_mov_b32 s55, 0x4020100                                   // 000000002E50: BEB700FF 04020100
	s_mov_b32 s6, 0x3fb8aa3b                                   // 000000002E58: BE8600FF 3FB8AA3B
	s_mov_b32 s78, 0xbd92220c                                  // 000000002E60: BECE00FF BD92220C
	s_mov_b32 s79, 0xbd92220c                                  // 000000002E68: BECF00FF BD92220C
	s_mov_b32 m0, s48                                          // 000000002E70: BEFC0030
	v_mov_b32_e32 v1, 0xbfcc4231                               // 000000002E74: 7E0202FF BFCC4231
	v_mov_b32_e32 v17, 0xffff0000                              // 000000002E7C: 7E2202FF FFFF0000
	v_mov_b32_e32 v18, 0x7fff0000                              // 000000002E84: 7E2402FF 7FFF0000
	v_mov_b32_e32 v19, 0x7fff                                  // 000000002E8C: 7E2602FF 00007FFF
	s_waitcnt vmcnt(0) expcnt(0) lgkmcnt(0)                    // 000000002E94: BF8C0000
	v_lshrrev_b32_e32 v4, 5, v0                                // 000000002E98: 20080085
	v_xor_b32_e32 v5, 1, v4                                    // 000000002E9C: 2A0A0881
	v_readlane_b32 s82, v3, 0                                  // 000000002EA0: D2890052 00010103
	s_and_b32 s82, s82, 0xffffff                               // 000000002EA8: 8652FF52 00FFFFFF
	v_mul_lo_u32 v6, v5, s82                                   // 000000002EB0: D2850006 0000A505
	v_readlane_b32 s82, v3, 1                                  // 000000002EB8: D2890052 00010303
	s_and_b32 s82, s82, 0xffffff                               // 000000002EC0: 8652FF52 00FFFFFF
	v_mul_lo_u32 v7, v4, s82                                   // 000000002EC8: D2850007 0000A504
	v_add_u32_e32 v38, v6, v7                                  // 000000002ED0: 684C0F06
	v_mul_lo_u32 v38, v38, s68                                 // 000000002ED4: D2850026 00008926
	v_readlane_b32 s82, v3, 2                                  // 000000002EDC: D2890052 00010503
	s_and_b32 s82, s82, 0xffffff                               // 000000002EE4: 8652FF52 00FFFFFF
	v_mul_lo_u32 v6, v5, s82                                   // 000000002EEC: D2850006 0000A505
	v_readlane_b32 s82, v3, 3                                  // 000000002EF4: D2890052 00010703
	s_and_b32 s82, s82, 0xffffff                               // 000000002EFC: 8652FF52 00FFFFFF
	v_mul_lo_u32 v7, v4, s82                                   // 000000002F04: D2850007 0000A504
	v_add_u32_e32 v39, v6, v7                                  // 000000002F0C: 684E0F06
	v_mul_lo_u32 v39, v39, s68                                 // 000000002F10: D2850027 00008927
	v_readlane_b32 s82, v3, 4                                  // 000000002F18: D2890052 00010903
	s_and_b32 s82, s82, 0xffffff                               // 000000002F20: 8652FF52 00FFFFFF
	v_mul_lo_u32 v6, v5, s82                                   // 000000002F28: D2850006 0000A505
	v_readlane_b32 s82, v3, 5                                  // 000000002F30: D2890052 00010B03
	s_and_b32 s82, s82, 0xffffff                               // 000000002F38: 8652FF52 00FFFFFF
	v_mul_lo_u32 v7, v4, s82                                   // 000000002F40: D2850007 0000A504
	v_add_u32_e32 v40, v6, v7                                  // 000000002F48: 68500F06
	v_mul_lo_u32 v40, v40, s68                                 // 000000002F4C: D2850028 00008928
	v_readlane_b32 s82, v3, 6                                  // 000000002F54: D2890052 00010D03
	s_and_b32 s82, s82, 0xffffff                               // 000000002F5C: 8652FF52 00FFFFFF
	v_mul_lo_u32 v6, v5, s82                                   // 000000002F64: D2850006 0000A505
	v_readlane_b32 s82, v3, 7                                  // 000000002F6C: D2890052 00010F03
	s_and_b32 s82, s82, 0xffffff                               // 000000002F74: 8652FF52 00FFFFFF
	v_mul_lo_u32 v7, v4, s82                                   // 000000002F7C: D2850007 0000A504
	v_add_u32_e32 v41, v6, v7                                  // 000000002F84: 68520F06
	v_mul_lo_u32 v41, v41, s68                                 // 000000002F88: D2850029 00008929
	v_and_b32_e32 v4, 31, v0                                   // 000000002F90: 2608009F
	v_lshlrev_b32_e32 v4, 2, v4                                // 000000002F94: 24080882
	v_add_u32_e32 v38, v38, v4                                 // 000000002F98: 684C0926
	v_add_u32_e32 v39, v39, v4                                 // 000000002F9C: 684E0927
	v_add_u32_e32 v40, v40, v4                                 // 000000002FA0: 68500928
	v_add_u32_e32 v41, v41, v4                                 // 000000002FA4: 68520929
	v_and_b32_e32 v30, 0xffffff, v30                           // 000000002FA8: 263C3CFF 00FFFFFF
	v_lshlrev_b32_e32 v30, 2, v30                              // 000000002FB0: 243C3C82
	v_and_b32_e32 v31, 0xffffff, v31                           // 000000002FB4: 263E3EFF 00FFFFFF
	v_lshlrev_b32_e32 v31, 2, v31                              // 000000002FBC: 243E3E82
	s_lshl_b32 s3, s66, 2                                      // 000000002FC0: 8E038242
	buffer_load_dword v32, v30, s[28:31], 0 offen              // 000000002FC4: E0501000 8007201E
	buffer_load_dword v33, v31, s[28:31], 0 offen              // 000000002FCC: E0501000 8007211F
	buffer_load_dword v24, v22, s[32:35], 0 offen              // 000000002FD4: E0501000 80081816
	s_mul_i32 s60, 4, s65                                      // 000000002FDC: 923C4184
	s_add_u32 s32, s60, s32                                    // 000000002FE0: 8020203C
	s_addc_u32 s33, 0, s33                                     // 000000002FE4: 82212180
	buffer_load_dword v27, v22, s[32:35], 0 offen              // 000000002FE8: E0501000 80081B16
	buffer_load_dword v38, s[20:23], 0 offen lds               // 000000002FF0: E0511000 80050026
	s_add_u32 m0, 0x100, s48                                   // 000000002FF8: 807C30FF 00000100
	buffer_load_dword v39, s[20:23], 0 offen lds               // 000000003000: E0511000 80050027
	s_add_u32 m0, 0x200, s48                                   // 000000003008: 807C30FF 00000200
	buffer_load_dword v40, s[20:23], 0 offen lds               // 000000003010: E0511000 80050028
	s_add_u32 m0, 0x300, s48                                   // 000000003018: 807C30FF 00000300
	buffer_load_dword v41, s[20:23], 0 offen lds               // 000000003020: E0511000 80050029
	s_add_u32 m0, 0, s49                                       // 000000003028: 807C3180
	s_add_u32 s20, s57, s20                                    // 00000000302C: 80141439
	s_addc_u32 s21, 0, s21                                     // 000000003030: 82151580
	buffer_load_dwordx4 a[32:35], v42, s[24:27], 0 offen       // 000000003034: E05C1000 8086202A
	buffer_load_dwordx4 a[36:39], v42, s[24:27], 0 offen offset:1024// 00000000303C: E05C1400 8086242A
	s_add_u32 s24, s58, s24                                    // 000000003044: 8018183A
	s_addc_u32 s25, 0, s25                                     // 000000003048: 82191980
	buffer_load_dword v38, s[20:23], 0 offen lds               // 00000000304C: E0511000 80050026
	s_add_u32 m0, 0x100, s49                                   // 000000003054: 807C31FF 00000100
	buffer_load_dword v39, s[20:23], 0 offen lds               // 00000000305C: E0511000 80050027
	s_add_u32 m0, 0x200, s49                                   // 000000003064: 807C31FF 00000200
	buffer_load_dword v40, s[20:23], 0 offen lds               // 00000000306C: E0511000 80050028
	s_add_u32 m0, 0x300, s49                                   // 000000003074: 807C31FF 00000300
	buffer_load_dword v41, s[20:23], 0 offen lds               // 00000000307C: E0511000 80050029
	s_add_u32 m0, 0, s50                                       // 000000003084: 807C3280
	s_add_u32 s20, s57, s20                                    // 000000003088: 80141439
	s_addc_u32 s21, 0, s21                                     // 00000000308C: 82151580
	buffer_load_dwordx4 a[40:43], v42, s[84:87], 0 offen       // 000000003090: E05C1000 8095282A
	buffer_load_dwordx4 a[44:47], v42, s[84:87], 0 offen offset:1024// 000000003098: E05C1400 80952C2A
	s_add_u32 s84, s83, s84                                    // 0000000030A0: 80545453
	s_addc_u32 s85, 0, s85                                     // 0000000030A4: 82555580
	s_waitcnt vmcnt(8)                                         // 0000000030A8: BF8C0F78
	s_barrier                                                  // 0000000030AC: BF8A0000
	ds_read_b128 a[0:3], v2                                    // 0000000030B0: DBFE0000 00000002
	ds_read_b128 a[4:7], v2 offset:64                          // 0000000030B8: DBFE0040 04000002
	ds_read_b128 a[8:11], v2 offset:512                        // 0000000030C0: DBFE0200 08000002
	ds_read_b128 a[12:15], v2 offset:576                       // 0000000030C8: DBFE0240 0C000002
	s_cmp_lt_i32 s7, 2                                         // 0000000030D0: BF048207
	s_cbranch_scc0 label_0761                                  // 0000000030D4: BF8405A8

00000000000030d8 <label_01B6>:
	s_waitcnt vmcnt(6) lgkmcnt(0)                              // 0000000030D8: BF8C0076
	v_mfma_f32_16x16x32_fp8_fp8 v[44:47], a[32:33], a[0:1], v[44:47]// 0000000030DC: D3F3002C 1CB20120
	v_mfma_f32_16x16x32_fp8_fp8 v[44:47], a[34:35], a[2:3], v[44:47]// 0000000030E4: D3F3002C 1CB20522
	buffer_load_dwordx4 a[48:51], v42, s[24:27], 0 offen       // 0000000030EC: E05C1000 8086302A
	v_mfma_f32_16x16x32_fp8_fp8 v[44:47], a[36:37], a[4:5], v[44:47]// 0000000030F4: D3F3002C 1CB20924
	v_mfma_f32_16x16x32_fp8_fp8 v[44:47], a[38:39], a[6:7], v[44:47]// 0000000030FC: D3F3002C 1CB20D26
	v_mfma_f32_16x16x32_fp8_fp8 v[48:51], a[32:33], a[8:9], v[48:51]// 000000003104: D3F30030 1CC21120
	v_mfma_f32_16x16x32_fp8_fp8 v[48:51], a[34:35], a[10:11], v[48:51]// 00000000310C: D3F30030 1CC21522
	buffer_load_dwordx4 a[52:55], v42, s[24:27], 0 offen offset:1024// 000000003114: E05C1400 8086342A
	buffer_load_dword v38, s[20:23], 0 offen lds               // 00000000311C: E0511000 80050026
	s_add_u32 m0, 0x100, s50                                   // 000000003124: 807C32FF 00000100
	v_mfma_f32_16x16x32_fp8_fp8 v[48:51], a[36:37], a[12:13], v[48:51]// 00000000312C: D3F30030 1CC21924
	v_mfma_f32_16x16x32_fp8_fp8 v[48:51], a[38:39], a[14:15], v[48:51]// 000000003134: D3F30030 1CC21D26
	buffer_load_dword v39, s[20:23], 0 offen lds               // 00000000313C: E0511000 80050027
	s_add_u32 m0, 0x200, s50                                   // 000000003144: 807C32FF 00000200
	buffer_load_dword v40, s[20:23], 0 offen lds               // 00000000314C: E0511000 80050028
	s_add_u32 m0, 0x300, s50                                   // 000000003154: 807C32FF 00000300
	buffer_load_dword v41, s[20:23], 0 offen lds               // 00000000315C: E0511000 80050029
	s_add_u32 m0, 0, s48                                       // 000000003164: 807C3080
	s_waitcnt vmcnt(6)                                         // 000000003168: BF8C0F76
	s_barrier                                                  // 00000000316C: BF8A0000
	v_mfma_f32_16x16x32_fp8_fp8 v[52:55], a[40:41], a[0:1], v[52:55]// 000000003170: D3F30034 1CD20128
	s_add_u32 s60, 0x180, s80                                  // 000000003178: 803C50FF 00000180
	s_cmp_lt_u32 s60, s81                                      // 000000003180: BF0A513C
	s_cselect_b32 s57, s57, 0                                  // 000000003184: 85398039
	v_mfma_f32_16x16x32_fp8_fp8 v[52:55], a[42:43], a[2:3], v[52:55]// 000000003188: D3F30034 1CD2052A
	buffer_load_dwordx4 a[32:35], v42, s[84:87], 0 offen       // 000000003190: E05C1000 8095202A
	s_add_u32 s60, 0x100, s80                                  // 000000003198: 803C50FF 00000100
	s_cmp_lt_u32 s60, s81                                      // 0000000031A0: BF0A513C
	s_cselect_b32 s58, s58, 0                                  // 0000000031A4: 853A803A
	v_mfma_f32_16x16x32_fp8_fp8 v[52:55], a[44:45], a[4:5], v[52:55]// 0000000031A8: D3F30034 1CD2092C
	s_add_u32 s60, 0x100, s80                                  // 0000000031B0: 803C50FF 00000100
	s_cmp_lt_u32 s60, s81                                      // 0000000031B8: BF0A513C
	s_cselect_b32 s83, s83, 0                                  // 0000000031BC: 85538053
	v_mfma_f32_16x16x32_fp8_fp8 v[52:55], a[46:47], a[6:7], v[52:55]// 0000000031C0: D3F30034 1CD20D2E
	ds_read_b128 a[16:19], v2 offset:4224                      // 0000000031C8: DBFE1080 10000002
	ds_read_b128 a[20:23], v2 offset:4288                      // 0000000031D0: DBFE10C0 14000002
	s_add_u32 s24, s58, s24                                    // 0000000031D8: 8018183A
	s_addc_u32 s25, 0, s25                                     // 0000000031DC: 82191980
	v_mfma_f32_16x16x32_fp8_fp8 v[56:59], a[40:41], a[8:9], v[56:59]// 0000000031E0: D3F30038 1CE21128
	s_add_u32 s20, s57, s20                                    // 0000000031E8: 80141439
	s_addc_u32 s21, 0, s21                                     // 0000000031EC: 82151580
	v_mfma_f32_16x16x32_fp8_fp8 v[56:59], a[42:43], a[10:11], v[56:59]// 0000000031F0: D3F30038 1CE2152A
	buffer_load_dwordx4 a[36:39], v42, s[84:87], 0 offen offset:1024// 0000000031F8: E05C1400 8095242A
	s_add_u32 s84, s83, s84                                    // 000000003200: 80545453
	s_addc_u32 s85, 0, s85                                     // 000000003204: 82555580
	v_mfma_f32_16x16x32_fp8_fp8 v[56:59], a[44:45], a[12:13], v[56:59]// 000000003208: D3F30038 1CE2192C
	v_mfma_f32_16x16x32_fp8_fp8 v[56:59], a[46:47], a[14:15], v[56:59]// 000000003210: D3F30038 1CE21D2E
	ds_read_b128 a[24:27], v2 offset:4736                      // 000000003218: DBFE1280 18000002
	ds_read_b128 a[28:31], v2 offset:4800                      // 000000003220: DBFE12C0 1C000002
	s_addk_i32 s80, 0x80                                       // 000000003228: B7500080
	s_cmp_lt_i32 s80, s81                                      // 00000000322C: BF045150
	s_cbranch_scc0 label_03C1                                  // 000000003230: BF8401B4
	s_waitcnt vmcnt(6) lgkmcnt(0)                              // 000000003234: BF8C0076
	v_mfma_f32_16x16x32_fp8_fp8 v[44:47], a[48:49], a[16:17], v[44:47]// 000000003238: D3F3002C 1CB22130
	v_mfma_f32_16x16x32_fp8_fp8 v[44:47], a[50:51], a[18:19], v[44:47]// 000000003240: D3F3002C 1CB22532
	buffer_load_dwordx4 a[40:43], v42, s[24:27], 0 offen       // 000000003248: E05C1000 8086282A
	v_mfma_f32_16x16x32_fp8_fp8 v[44:47], a[52:53], a[20:21], v[44:47]// 000000003250: D3F3002C 1CB22934
	v_mfma_f32_16x16x32_fp8_fp8 v[44:47], a[54:55], a[22:23], v[44:47]// 000000003258: D3F3002C 1CB22D36
	v_mfma_f32_16x16x32_fp8_fp8 v[48:51], a[48:49], a[24:25], v[48:51]// 000000003260: D3F30030 1CC23130
	v_mfma_f32_16x16x32_fp8_fp8 v[48:51], a[50:51], a[26:27], v[48:51]// 000000003268: D3F30030 1CC23532
	buffer_load_dwordx4 a[44:47], v42, s[24:27], 0 offen offset:1024// 000000003270: E05C1400 80862C2A
	buffer_load_dword v38, s[20:23], 0 offen lds               // 000000003278: E0511000 80050026
	s_add_u32 m0, 0x100, s48                                   // 000000003280: 807C30FF 00000100
	v_mfma_f32_16x16x32_fp8_fp8 v[48:51], a[52:53], a[28:29], v[48:51]// 000000003288: D3F30030 1CC23934
	v_mfma_f32_16x16x32_fp8_fp8 v[48:51], a[54:55], a[30:31], v[48:51]// 000000003290: D3F30030 1CC23D36
	buffer_load_dword v39, s[20:23], 0 offen lds               // 000000003298: E0511000 80050027
	s_add_u32 m0, 0x200, s48                                   // 0000000032A0: 807C30FF 00000200
	buffer_load_dword v40, s[20:23], 0 offen lds               // 0000000032A8: E0511000 80050028
	s_add_u32 m0, 0x300, s48                                   // 0000000032B0: 807C30FF 00000300
	buffer_load_dword v41, s[20:23], 0 offen lds               // 0000000032B8: E0511000 80050029
	s_add_u32 m0, 0, s49                                       // 0000000032C0: 807C3180
	s_waitcnt vmcnt(6)                                         // 0000000032C4: BF8C0F76
	s_barrier                                                  // 0000000032C8: BF8A0000
	v_mfma_f32_16x16x32_fp8_fp8 v[52:55], a[32:33], a[16:17], v[52:55]// 0000000032CC: D3F30034 1CD22120
	s_add_u32 s60, 0x180, s80                                  // 0000000032D4: 803C50FF 00000180
	s_cmp_lt_u32 s60, s81                                      // 0000000032DC: BF0A513C
	s_cselect_b32 s57, s57, 0                                  // 0000000032E0: 85398039
	v_mfma_f32_16x16x32_fp8_fp8 v[52:55], a[34:35], a[18:19], v[52:55]// 0000000032E4: D3F30034 1CD22522
	buffer_load_dwordx4 a[48:51], v42, s[84:87], 0 offen       // 0000000032EC: E05C1000 8095302A
	s_add_u32 s60, 0x100, s80                                  // 0000000032F4: 803C50FF 00000100
	s_cmp_lt_u32 s60, s81                                      // 0000000032FC: BF0A513C
	s_cselect_b32 s58, s58, 0                                  // 000000003300: 853A803A
	v_mfma_f32_16x16x32_fp8_fp8 v[52:55], a[36:37], a[20:21], v[52:55]// 000000003304: D3F30034 1CD22924
	s_add_u32 s60, 0x100, s80                                  // 00000000330C: 803C50FF 00000100
	s_cmp_lt_u32 s60, s81                                      // 000000003314: BF0A513C
	s_cselect_b32 s83, s83, 0                                  // 000000003318: 85538053
	v_mfma_f32_16x16x32_fp8_fp8 v[52:55], a[38:39], a[22:23], v[52:55]// 00000000331C: D3F30034 1CD22D26
	ds_read_b128 a[0:3], v2 offset:8448                        // 000000003324: DBFE2100 00000002
	ds_read_b128 a[4:7], v2 offset:8512                        // 00000000332C: DBFE2140 04000002
	s_add_u32 s24, s58, s24                                    // 000000003334: 8018183A
	s_addc_u32 s25, 0, s25                                     // 000000003338: 82191980
	v_mfma_f32_16x16x32_fp8_fp8 v[56:59], a[32:33], a[24:25], v[56:59]// 00000000333C: D3F30038 1CE23120
	s_add_u32 s20, s57, s20                                    // 000000003344: 80141439
	s_addc_u32 s21, 0, s21                                     // 000000003348: 82151580
	v_mfma_f32_16x16x32_fp8_fp8 v[56:59], a[34:35], a[26:27], v[56:59]// 00000000334C: D3F30038 1CE23522
	buffer_load_dwordx4 a[52:55], v42, s[84:87], 0 offen offset:1024// 000000003354: E05C1400 8095342A
	s_add_u32 s84, s83, s84                                    // 00000000335C: 80545453
	s_addc_u32 s85, 0, s85                                     // 000000003360: 82555580
	v_mfma_f32_16x16x32_fp8_fp8 v[56:59], a[36:37], a[28:29], v[56:59]// 000000003364: D3F30038 1CE23924
	v_mfma_f32_16x16x32_fp8_fp8 v[56:59], a[38:39], a[30:31], v[56:59]// 00000000336C: D3F30038 1CE23D26
	ds_read_b128 a[8:11], v2 offset:8960                       // 000000003374: DBFE2300 08000002
	ds_read_b128 a[12:15], v2 offset:9024                      // 00000000337C: DBFE2340 0C000002
	s_addk_i32 s80, 0x80                                       // 000000003384: B7500080
	s_cmp_lt_i32 s80, s81                                      // 000000003388: BF045150
	s_cbranch_scc0 label_03C1                                  // 00000000338C: BF84015D
	s_waitcnt vmcnt(6) lgkmcnt(0)                              // 000000003390: BF8C0076
	v_mfma_f32_16x16x32_fp8_fp8 v[44:47], a[40:41], a[0:1], v[44:47]// 000000003394: D3F3002C 1CB20128
	v_mfma_f32_16x16x32_fp8_fp8 v[44:47], a[42:43], a[2:3], v[44:47]// 00000000339C: D3F3002C 1CB2052A
	buffer_load_dwordx4 a[32:35], v42, s[24:27], 0 offen       // 0000000033A4: E05C1000 8086202A
	v_mfma_f32_16x16x32_fp8_fp8 v[44:47], a[44:45], a[4:5], v[44:47]// 0000000033AC: D3F3002C 1CB2092C
	v_mfma_f32_16x16x32_fp8_fp8 v[44:47], a[46:47], a[6:7], v[44:47]// 0000000033B4: D3F3002C 1CB20D2E
	v_mfma_f32_16x16x32_fp8_fp8 v[48:51], a[40:41], a[8:9], v[48:51]// 0000000033BC: D3F30030 1CC21128
	v_mfma_f32_16x16x32_fp8_fp8 v[48:51], a[42:43], a[10:11], v[48:51]// 0000000033C4: D3F30030 1CC2152A
	buffer_load_dwordx4 a[36:39], v42, s[24:27], 0 offen offset:1024// 0000000033CC: E05C1400 8086242A
	buffer_load_dword v38, s[20:23], 0 offen lds               // 0000000033D4: E0511000 80050026
	s_add_u32 m0, 0x100, s49                                   // 0000000033DC: 807C31FF 00000100
	v_mfma_f32_16x16x32_fp8_fp8 v[48:51], a[44:45], a[12:13], v[48:51]// 0000000033E4: D3F30030 1CC2192C
	v_mfma_f32_16x16x32_fp8_fp8 v[48:51], a[46:47], a[14:15], v[48:51]// 0000000033EC: D3F30030 1CC21D2E
	buffer_load_dword v39, s[20:23], 0 offen lds               // 0000000033F4: E0511000 80050027
	s_add_u32 m0, 0x200, s49                                   // 0000000033FC: 807C31FF 00000200
	buffer_load_dword v40, s[20:23], 0 offen lds               // 000000003404: E0511000 80050028
	s_add_u32 m0, 0x300, s49                                   // 00000000340C: 807C31FF 00000300
	buffer_load_dword v41, s[20:23], 0 offen lds               // 000000003414: E0511000 80050029
	s_add_u32 m0, 0, s50                                       // 00000000341C: 807C3280
	s_waitcnt vmcnt(6)                                         // 000000003420: BF8C0F76
	s_barrier                                                  // 000000003424: BF8A0000
	v_mfma_f32_16x16x32_fp8_fp8 v[52:55], a[48:49], a[0:1], v[52:55]// 000000003428: D3F30034 1CD20130
	s_add_u32 s60, 0x180, s80                                  // 000000003430: 803C50FF 00000180
	s_cmp_lt_u32 s60, s81                                      // 000000003438: BF0A513C
	s_cselect_b32 s57, s57, 0                                  // 00000000343C: 85398039
	v_mfma_f32_16x16x32_fp8_fp8 v[52:55], a[50:51], a[2:3], v[52:55]// 000000003440: D3F30034 1CD20532
	buffer_load_dwordx4 a[40:43], v42, s[84:87], 0 offen       // 000000003448: E05C1000 8095282A
	s_add_u32 s60, 0x100, s80                                  // 000000003450: 803C50FF 00000100
	s_cmp_lt_u32 s60, s81                                      // 000000003458: BF0A513C
	s_cselect_b32 s58, s58, 0                                  // 00000000345C: 853A803A
	v_mfma_f32_16x16x32_fp8_fp8 v[52:55], a[52:53], a[4:5], v[52:55]// 000000003460: D3F30034 1CD20934
	s_add_u32 s60, 0x100, s80                                  // 000000003468: 803C50FF 00000100
	s_cmp_lt_u32 s60, s81                                      // 000000003470: BF0A513C
	s_cselect_b32 s83, s83, 0                                  // 000000003474: 85538053
	v_mfma_f32_16x16x32_fp8_fp8 v[52:55], a[54:55], a[6:7], v[52:55]// 000000003478: D3F30034 1CD20D36
	ds_read_b128 a[16:19], v2                                  // 000000003480: DBFE0000 10000002
	ds_read_b128 a[20:23], v2 offset:64                        // 000000003488: DBFE0040 14000002
	s_add_u32 s24, s58, s24                                    // 000000003490: 8018183A
	s_addc_u32 s25, 0, s25                                     // 000000003494: 82191980
	v_mfma_f32_16x16x32_fp8_fp8 v[56:59], a[48:49], a[8:9], v[56:59]// 000000003498: D3F30038 1CE21130
	s_add_u32 s20, s57, s20                                    // 0000000034A0: 80141439
	s_addc_u32 s21, 0, s21                                     // 0000000034A4: 82151580
	v_mfma_f32_16x16x32_fp8_fp8 v[56:59], a[50:51], a[10:11], v[56:59]// 0000000034A8: D3F30038 1CE21532
	buffer_load_dwordx4 a[44:47], v42, s[84:87], 0 offen offset:1024// 0000000034B0: E05C1400 80952C2A
	s_add_u32 s84, s83, s84                                    // 0000000034B8: 80545453
	s_addc_u32 s85, 0, s85                                     // 0000000034BC: 82555580
	v_mfma_f32_16x16x32_fp8_fp8 v[56:59], a[52:53], a[12:13], v[56:59]// 0000000034C0: D3F30038 1CE21934
	v_mfma_f32_16x16x32_fp8_fp8 v[56:59], a[54:55], a[14:15], v[56:59]// 0000000034C8: D3F30038 1CE21D36
	ds_read_b128 a[24:27], v2 offset:512                       // 0000000034D0: DBFE0200 18000002
	ds_read_b128 a[28:31], v2 offset:576                       // 0000000034D8: DBFE0240 1C000002
	s_addk_i32 s80, 0x80                                       // 0000000034E0: B7500080
	s_cmp_lt_i32 s80, s81                                      // 0000000034E4: BF045150
	s_cbranch_scc0 label_03C1                                  // 0000000034E8: BF840106
	s_waitcnt vmcnt(6) lgkmcnt(0)                              // 0000000034EC: BF8C0076
	v_mfma_f32_16x16x32_fp8_fp8 v[44:47], a[32:33], a[16:17], v[44:47]// 0000000034F0: D3F3002C 1CB22120
	v_mfma_f32_16x16x32_fp8_fp8 v[44:47], a[34:35], a[18:19], v[44:47]// 0000000034F8: D3F3002C 1CB22522
	buffer_load_dwordx4 a[48:51], v42, s[24:27], 0 offen       // 000000003500: E05C1000 8086302A
	v_mfma_f32_16x16x32_fp8_fp8 v[44:47], a[36:37], a[20:21], v[44:47]// 000000003508: D3F3002C 1CB22924
	v_mfma_f32_16x16x32_fp8_fp8 v[44:47], a[38:39], a[22:23], v[44:47]// 000000003510: D3F3002C 1CB22D26
	v_mfma_f32_16x16x32_fp8_fp8 v[48:51], a[32:33], a[24:25], v[48:51]// 000000003518: D3F30030 1CC23120
	v_mfma_f32_16x16x32_fp8_fp8 v[48:51], a[34:35], a[26:27], v[48:51]// 000000003520: D3F30030 1CC23522
	buffer_load_dwordx4 a[52:55], v42, s[24:27], 0 offen offset:1024// 000000003528: E05C1400 8086342A
	buffer_load_dword v38, s[20:23], 0 offen lds               // 000000003530: E0511000 80050026
	s_add_u32 m0, 0x100, s50                                   // 000000003538: 807C32FF 00000100
	v_mfma_f32_16x16x32_fp8_fp8 v[48:51], a[36:37], a[28:29], v[48:51]// 000000003540: D3F30030 1CC23924
	v_mfma_f32_16x16x32_fp8_fp8 v[48:51], a[38:39], a[30:31], v[48:51]// 000000003548: D3F30030 1CC23D26
	buffer_load_dword v39, s[20:23], 0 offen lds               // 000000003550: E0511000 80050027
	s_add_u32 m0, 0x200, s50                                   // 000000003558: 807C32FF 00000200
	buffer_load_dword v40, s[20:23], 0 offen lds               // 000000003560: E0511000 80050028
	s_add_u32 m0, 0x300, s50                                   // 000000003568: 807C32FF 00000300
	buffer_load_dword v41, s[20:23], 0 offen lds               // 000000003570: E0511000 80050029
	s_add_u32 m0, 0, s48                                       // 000000003578: 807C3080
	s_waitcnt vmcnt(6)                                         // 00000000357C: BF8C0F76
	s_barrier                                                  // 000000003580: BF8A0000
	v_mfma_f32_16x16x32_fp8_fp8 v[52:55], a[40:41], a[16:17], v[52:55]// 000000003584: D3F30034 1CD22128
	s_add_u32 s60, 0x180, s80                                  // 00000000358C: 803C50FF 00000180
	s_cmp_lt_u32 s60, s81                                      // 000000003594: BF0A513C
	s_cselect_b32 s57, s57, 0                                  // 000000003598: 85398039
	v_mfma_f32_16x16x32_fp8_fp8 v[52:55], a[42:43], a[18:19], v[52:55]// 00000000359C: D3F30034 1CD2252A
	buffer_load_dwordx4 a[32:35], v42, s[84:87], 0 offen       // 0000000035A4: E05C1000 8095202A
	s_add_u32 s60, 0x100, s80                                  // 0000000035AC: 803C50FF 00000100
	s_cmp_lt_u32 s60, s81                                      // 0000000035B4: BF0A513C
	s_cselect_b32 s58, s58, 0                                  // 0000000035B8: 853A803A
	v_mfma_f32_16x16x32_fp8_fp8 v[52:55], a[44:45], a[20:21], v[52:55]// 0000000035BC: D3F30034 1CD2292C
	s_add_u32 s60, 0x100, s80                                  // 0000000035C4: 803C50FF 00000100
	s_cmp_lt_u32 s60, s81                                      // 0000000035CC: BF0A513C
	s_cselect_b32 s83, s83, 0                                  // 0000000035D0: 85538053
	v_mfma_f32_16x16x32_fp8_fp8 v[52:55], a[46:47], a[22:23], v[52:55]// 0000000035D4: D3F30034 1CD22D2E
	ds_read_b128 a[0:3], v2 offset:4224                        // 0000000035DC: DBFE1080 00000002
	ds_read_b128 a[4:7], v2 offset:4288                        // 0000000035E4: DBFE10C0 04000002
	s_add_u32 s24, s58, s24                                    // 0000000035EC: 8018183A
	s_addc_u32 s25, 0, s25                                     // 0000000035F0: 82191980
	v_mfma_f32_16x16x32_fp8_fp8 v[56:59], a[40:41], a[24:25], v[56:59]// 0000000035F4: D3F30038 1CE23128
	s_add_u32 s20, s57, s20                                    // 0000000035FC: 80141439
	s_addc_u32 s21, 0, s21                                     // 000000003600: 82151580
	v_mfma_f32_16x16x32_fp8_fp8 v[56:59], a[42:43], a[26:27], v[56:59]// 000000003604: D3F30038 1CE2352A
	buffer_load_dwordx4 a[36:39], v42, s[84:87], 0 offen offset:1024// 00000000360C: E05C1400 8095242A
	s_add_u32 s84, s83, s84                                    // 000000003614: 80545453
	s_addc_u32 s85, 0, s85                                     // 000000003618: 82555580
	v_mfma_f32_16x16x32_fp8_fp8 v[56:59], a[44:45], a[28:29], v[56:59]// 00000000361C: D3F30038 1CE2392C
	v_mfma_f32_16x16x32_fp8_fp8 v[56:59], a[46:47], a[30:31], v[56:59]// 000000003624: D3F30038 1CE23D2E
	ds_read_b128 a[8:11], v2 offset:4736                       // 00000000362C: DBFE1280 08000002
	ds_read_b128 a[12:15], v2 offset:4800                      // 000000003634: DBFE12C0 0C000002
	s_addk_i32 s80, 0x80                                       // 00000000363C: B7500080
	s_cmp_lt_i32 s80, s81                                      // 000000003640: BF045150
	s_cbranch_scc0 label_03C1                                  // 000000003644: BF8400AF
	s_waitcnt vmcnt(6) lgkmcnt(0)                              // 000000003648: BF8C0076
	v_mfma_f32_16x16x32_fp8_fp8 v[44:47], a[48:49], a[0:1], v[44:47]// 00000000364C: D3F3002C 1CB20130
	v_mfma_f32_16x16x32_fp8_fp8 v[44:47], a[50:51], a[2:3], v[44:47]// 000000003654: D3F3002C 1CB20532
	buffer_load_dwordx4 a[40:43], v42, s[24:27], 0 offen       // 00000000365C: E05C1000 8086282A
	v_mfma_f32_16x16x32_fp8_fp8 v[44:47], a[52:53], a[4:5], v[44:47]// 000000003664: D3F3002C 1CB20934
	v_mfma_f32_16x16x32_fp8_fp8 v[44:47], a[54:55], a[6:7], v[44:47]// 00000000366C: D3F3002C 1CB20D36
	v_mfma_f32_16x16x32_fp8_fp8 v[48:51], a[48:49], a[8:9], v[48:51]// 000000003674: D3F30030 1CC21130
	v_mfma_f32_16x16x32_fp8_fp8 v[48:51], a[50:51], a[10:11], v[48:51]// 00000000367C: D3F30030 1CC21532
	buffer_load_dwordx4 a[44:47], v42, s[24:27], 0 offen offset:1024// 000000003684: E05C1400 80862C2A
	buffer_load_dword v38, s[20:23], 0 offen lds               // 00000000368C: E0511000 80050026
	s_add_u32 m0, 0x100, s48                                   // 000000003694: 807C30FF 00000100
	v_mfma_f32_16x16x32_fp8_fp8 v[48:51], a[52:53], a[12:13], v[48:51]// 00000000369C: D3F30030 1CC21934
	v_mfma_f32_16x16x32_fp8_fp8 v[48:51], a[54:55], a[14:15], v[48:51]// 0000000036A4: D3F30030 1CC21D36
	buffer_load_dword v39, s[20:23], 0 offen lds               // 0000000036AC: E0511000 80050027
	s_add_u32 m0, 0x200, s48                                   // 0000000036B4: 807C30FF 00000200
	buffer_load_dword v40, s[20:23], 0 offen lds               // 0000000036BC: E0511000 80050028
	s_add_u32 m0, 0x300, s48                                   // 0000000036C4: 807C30FF 00000300
	buffer_load_dword v41, s[20:23], 0 offen lds               // 0000000036CC: E0511000 80050029
	s_add_u32 m0, 0, s49                                       // 0000000036D4: 807C3180
	s_waitcnt vmcnt(6)                                         // 0000000036D8: BF8C0F76
	s_barrier                                                  // 0000000036DC: BF8A0000
	v_mfma_f32_16x16x32_fp8_fp8 v[52:55], a[32:33], a[0:1], v[52:55]// 0000000036E0: D3F30034 1CD20120
	s_add_u32 s60, 0x180, s80                                  // 0000000036E8: 803C50FF 00000180
	s_cmp_lt_u32 s60, s81                                      // 0000000036F0: BF0A513C
	s_cselect_b32 s57, s57, 0                                  // 0000000036F4: 85398039
	v_mfma_f32_16x16x32_fp8_fp8 v[52:55], a[34:35], a[2:3], v[52:55]// 0000000036F8: D3F30034 1CD20522
	buffer_load_dwordx4 a[48:51], v42, s[84:87], 0 offen       // 000000003700: E05C1000 8095302A
	s_add_u32 s60, 0x100, s80                                  // 000000003708: 803C50FF 00000100
	s_cmp_lt_u32 s60, s81                                      // 000000003710: BF0A513C
	s_cselect_b32 s58, s58, 0                                  // 000000003714: 853A803A
	v_mfma_f32_16x16x32_fp8_fp8 v[52:55], a[36:37], a[4:5], v[52:55]// 000000003718: D3F30034 1CD20924
	s_add_u32 s60, 0x100, s80                                  // 000000003720: 803C50FF 00000100
	s_cmp_lt_u32 s60, s81                                      // 000000003728: BF0A513C
	s_cselect_b32 s83, s83, 0                                  // 00000000372C: 85538053
	v_mfma_f32_16x16x32_fp8_fp8 v[52:55], a[38:39], a[6:7], v[52:55]// 000000003730: D3F30034 1CD20D26
	ds_read_b128 a[16:19], v2 offset:8448                      // 000000003738: DBFE2100 10000002
	ds_read_b128 a[20:23], v2 offset:8512                      // 000000003740: DBFE2140 14000002
	s_add_u32 s24, s58, s24                                    // 000000003748: 8018183A
	s_addc_u32 s25, 0, s25                                     // 00000000374C: 82191980
	v_mfma_f32_16x16x32_fp8_fp8 v[56:59], a[32:33], a[8:9], v[56:59]// 000000003750: D3F30038 1CE21120
	s_add_u32 s20, s57, s20                                    // 000000003758: 80141439
	s_addc_u32 s21, 0, s21                                     // 00000000375C: 82151580
	v_mfma_f32_16x16x32_fp8_fp8 v[56:59], a[34:35], a[10:11], v[56:59]// 000000003760: D3F30038 1CE21522
	buffer_load_dwordx4 a[52:55], v42, s[84:87], 0 offen offset:1024// 000000003768: E05C1400 8095342A
	s_add_u32 s84, s83, s84                                    // 000000003770: 80545453
	s_addc_u32 s85, 0, s85                                     // 000000003774: 82555580
	v_mfma_f32_16x16x32_fp8_fp8 v[56:59], a[36:37], a[12:13], v[56:59]// 000000003778: D3F30038 1CE21924
	v_mfma_f32_16x16x32_fp8_fp8 v[56:59], a[38:39], a[14:15], v[56:59]// 000000003780: D3F30038 1CE21D26
	ds_read_b128 a[24:27], v2 offset:8960                      // 000000003788: DBFE2300 18000002
	ds_read_b128 a[28:31], v2 offset:9024                      // 000000003790: DBFE2340 1C000002
	s_addk_i32 s80, 0x80                                       // 000000003798: B7500080
	s_cmp_lt_i32 s80, s81                                      // 00000000379C: BF045150
	s_cbranch_scc0 label_03C1                                  // 0000000037A0: BF840058
	s_waitcnt vmcnt(6) lgkmcnt(0)                              // 0000000037A4: BF8C0076
	v_mfma_f32_16x16x32_fp8_fp8 v[44:47], a[40:41], a[16:17], v[44:47]// 0000000037A8: D3F3002C 1CB22128
	v_mfma_f32_16x16x32_fp8_fp8 v[44:47], a[42:43], a[18:19], v[44:47]// 0000000037B0: D3F3002C 1CB2252A
	buffer_load_dwordx4 a[32:35], v42, s[24:27], 0 offen       // 0000000037B8: E05C1000 8086202A
	v_mfma_f32_16x16x32_fp8_fp8 v[44:47], a[44:45], a[20:21], v[44:47]// 0000000037C0: D3F3002C 1CB2292C
	v_mfma_f32_16x16x32_fp8_fp8 v[44:47], a[46:47], a[22:23], v[44:47]// 0000000037C8: D3F3002C 1CB22D2E
	v_mfma_f32_16x16x32_fp8_fp8 v[48:51], a[40:41], a[24:25], v[48:51]// 0000000037D0: D3F30030 1CC23128
	v_mfma_f32_16x16x32_fp8_fp8 v[48:51], a[42:43], a[26:27], v[48:51]// 0000000037D8: D3F30030 1CC2352A
	buffer_load_dwordx4 a[36:39], v42, s[24:27], 0 offen offset:1024// 0000000037E0: E05C1400 8086242A
	buffer_load_dword v38, s[20:23], 0 offen lds               // 0000000037E8: E0511000 80050026
	s_add_u32 m0, 0x100, s49                                   // 0000000037F0: 807C31FF 00000100
	v_mfma_f32_16x16x32_fp8_fp8 v[48:51], a[44:45], a[28:29], v[48:51]// 0000000037F8: D3F30030 1CC2392C
	v_mfma_f32_16x16x32_fp8_fp8 v[48:51], a[46:47], a[30:31], v[48:51]// 000000003800: D3F30030 1CC23D2E
	buffer_load_dword v39, s[20:23], 0 offen lds               // 000000003808: E0511000 80050027
	s_add_u32 m0, 0x200, s49                                   // 000000003810: 807C31FF 00000200
	buffer_load_dword v40, s[20:23], 0 offen lds               // 000000003818: E0511000 80050028
	s_add_u32 m0, 0x300, s49                                   // 000000003820: 807C31FF 00000300
	buffer_load_dword v41, s[20:23], 0 offen lds               // 000000003828: E0511000 80050029
	s_add_u32 m0, 0, s50                                       // 000000003830: 807C3280
	s_waitcnt vmcnt(6)                                         // 000000003834: BF8C0F76
	s_barrier                                                  // 000000003838: BF8A0000
	v_mfma_f32_16x16x32_fp8_fp8 v[52:55], a[48:49], a[16:17], v[52:55]// 00000000383C: D3F30034 1CD22130
	s_add_u32 s60, 0x180, s80                                  // 000000003844: 803C50FF 00000180
	s_cmp_lt_u32 s60, s81                                      // 00000000384C: BF0A513C
	s_cselect_b32 s57, s57, 0                                  // 000000003850: 85398039
	v_mfma_f32_16x16x32_fp8_fp8 v[52:55], a[50:51], a[18:19], v[52:55]// 000000003854: D3F30034 1CD22532
	buffer_load_dwordx4 a[40:43], v42, s[84:87], 0 offen       // 00000000385C: E05C1000 8095282A
	s_add_u32 s60, 0x100, s80                                  // 000000003864: 803C50FF 00000100
	s_cmp_lt_u32 s60, s81                                      // 00000000386C: BF0A513C
	s_cselect_b32 s58, s58, 0                                  // 000000003870: 853A803A
	v_mfma_f32_16x16x32_fp8_fp8 v[52:55], a[52:53], a[20:21], v[52:55]// 000000003874: D3F30034 1CD22934
	s_add_u32 s60, 0x100, s80                                  // 00000000387C: 803C50FF 00000100
	s_cmp_lt_u32 s60, s81                                      // 000000003884: BF0A513C
	s_cselect_b32 s83, s83, 0                                  // 000000003888: 85538053
	v_mfma_f32_16x16x32_fp8_fp8 v[52:55], a[54:55], a[22:23], v[52:55]// 00000000388C: D3F30034 1CD22D36
	ds_read_b128 a[0:3], v2                                    // 000000003894: DBFE0000 00000002
	ds_read_b128 a[4:7], v2 offset:64                          // 00000000389C: DBFE0040 04000002
	s_add_u32 s24, s58, s24                                    // 0000000038A4: 8018183A
	s_addc_u32 s25, 0, s25                                     // 0000000038A8: 82191980
	v_mfma_f32_16x16x32_fp8_fp8 v[56:59], a[48:49], a[24:25], v[56:59]// 0000000038AC: D3F30038 1CE23130
	s_add_u32 s20, s57, s20                                    // 0000000038B4: 80141439
	s_addc_u32 s21, 0, s21                                     // 0000000038B8: 82151580
	v_mfma_f32_16x16x32_fp8_fp8 v[56:59], a[50:51], a[26:27], v[56:59]// 0000000038BC: D3F30038 1CE23532
	buffer_load_dwordx4 a[44:47], v42, s[84:87], 0 offen offset:1024// 0000000038C4: E05C1400 80952C2A
	s_add_u32 s84, s83, s84                                    // 0000000038CC: 80545453
	s_addc_u32 s85, 0, s85                                     // 0000000038D0: 82555580
	v_mfma_f32_16x16x32_fp8_fp8 v[56:59], a[52:53], a[28:29], v[56:59]// 0000000038D4: D3F30038 1CE23934
	v_mfma_f32_16x16x32_fp8_fp8 v[56:59], a[54:55], a[30:31], v[56:59]// 0000000038DC: D3F30038 1CE23D36
	ds_read_b128 a[8:11], v2 offset:512                        // 0000000038E4: DBFE0200 08000002
	ds_read_b128 a[12:15], v2 offset:576                       // 0000000038EC: DBFE0240 0C000002
	s_addk_i32 s80, 0x80                                       // 0000000038F4: B7500080
	s_cmp_lt_i32 s80, s81                                      // 0000000038F8: BF045150
	s_cbranch_scc0 label_03C1                                  // 0000000038FC: BF840001
	s_branch label_01B6                                        // 000000003900: BF82FDF5

0000000000003904 <label_03C1>:
	v_mul_f32_dpp v44, v24, v44 row_newbcast:0 row_mask:0xf bank_mask:0xf// 000000003904: 0A5858FA FF015018
	v_mul_f32_dpp v45, v24, v45 row_newbcast:1 row_mask:0xf bank_mask:0xf// 00000000390C: 0A5A5AFA FF015118
	v_mul_f32_dpp v46, v24, v46 row_newbcast:2 row_mask:0xf bank_mask:0xf// 000000003914: 0A5C5CFA FF015218
	v_mul_f32_dpp v47, v24, v47 row_newbcast:3 row_mask:0xf bank_mask:0xf// 00000000391C: 0A5E5EFA FF015318
	v_mul_f32_dpp v48, v24, v48 row_newbcast:0 row_mask:0xf bank_mask:0xf// 000000003924: 0A6060FA FF015018
	v_mul_f32_dpp v49, v24, v49 row_newbcast:1 row_mask:0xf bank_mask:0xf// 00000000392C: 0A6262FA FF015118
	v_mul_f32_dpp v50, v24, v50 row_newbcast:2 row_mask:0xf bank_mask:0xf// 000000003934: 0A6464FA FF015218
	v_mul_f32_dpp v51, v24, v51 row_newbcast:3 row_mask:0xf bank_mask:0xf// 00000000393C: 0A6666FA FF015318
	v_mul_f32_dpp v52, v27, v52 row_newbcast:0 row_mask:0xf bank_mask:0xf// 000000003944: 0A6868FA FF01501B
	v_mul_f32_dpp v53, v27, v53 row_newbcast:1 row_mask:0xf bank_mask:0xf// 00000000394C: 0A6A6AFA FF01511B
	v_mul_f32_dpp v54, v27, v54 row_newbcast:2 row_mask:0xf bank_mask:0xf// 000000003954: 0A6C6CFA FF01521B
	v_mul_f32_dpp v55, v27, v55 row_newbcast:3 row_mask:0xf bank_mask:0xf// 00000000395C: 0A6E6EFA FF01531B
	v_mul_f32_dpp v56, v27, v56 row_newbcast:0 row_mask:0xf bank_mask:0xf// 000000003964: 0A7070FA FF01501B
	v_mul_f32_dpp v57, v27, v57 row_newbcast:1 row_mask:0xf bank_mask:0xf// 00000000396C: 0A7272FA FF01511B
	v_mul_f32_dpp v58, v27, v58 row_newbcast:2 row_mask:0xf bank_mask:0xf// 000000003974: 0A7474FA FF01521B
	v_mul_f32_dpp v59, v27, v59 row_newbcast:3 row_mask:0xf bank_mask:0xf// 00000000397C: 0A7676FA FF01531B
	v_mov_b32_e32 v4, v32                                      // 000000003984: 7E080320
	v_mov_b32_e32 v5, v4                                       // 000000003988: 7E0A0304
	v_pk_mul_f32 v[44:45], v[4:5], v[44:45]                    // 00000000398C: D3B1402C 18025904
	v_pk_mul_f32 v[52:53], v[4:5], v[52:53]                    // 000000003994: D3B14034 18026904
	v_pk_mul_f32 v[46:47], v[4:5], v[46:47]                    // 00000000399C: D3B1402E 18025D04
	v_pk_mul_f32 v[54:55], v[4:5], v[54:55]                    // 0000000039A4: D3B14036 18026D04
	v_mov_b32_e32 v4, v33                                      // 0000000039AC: 7E080321
	v_mov_b32_e32 v5, v4                                       // 0000000039B0: 7E0A0304
	v_pk_mul_f32 v[48:49], v[4:5], v[48:49]                    // 0000000039B4: D3B14030 18026104
	v_pk_mul_f32 v[56:57], v[4:5], v[56:57]                    // 0000000039BC: D3B14038 18027104
	v_pk_mul_f32 v[50:51], v[4:5], v[50:51]                    // 0000000039C4: D3B14032 18026504
	v_pk_mul_f32 v[58:59], v[4:5], v[58:59]                    // 0000000039CC: D3B1403A 18027504
	s_cmp_eq_u32 s88, 0                                        // 0000000039D4: BF068058
	s_cbranch_scc0 label_058C                                  // 0000000039D8: BF840195
	s_cmp_eq_u32 s89, 0                                        // 0000000039DC: BF068059
	s_cbranch_scc1 label_044E                                  // 0000000039E0: BF850055
	v_mov_b32_e32 v8, v1                                       // 0000000039E4: 7E100301
	v_mov_b32_e32 v9, v1                                       // 0000000039E8: 7E120301
	s_mov_b32 s60, s6                                          // 0000000039EC: BEBC0006
	s_mov_b32 s61, s6                                          // 0000000039F0: BEBD0006
	v_pk_mul_f32 v[4:5], v[44:45], v[44:45]                    // 0000000039F4: D3B14004 1802592C
	v_pk_mul_f32 v[6:7], v[46:47], v[46:47]                    // 0000000039FC: D3B14006 18025D2E
	v_pk_fma_f32 v[4:5], v[4:5], s[78:79], v[8:9]              // 000000003A04: D3B04004 1C209D04
	v_pk_fma_f32 v[6:7], v[6:7], s[78:79], v[8:9]              // 000000003A0C: D3B04006 1C209D06
	v_pk_mul_f32 v[4:5], v[4:5], v[44:45]                      // 000000003A14: D3B14004 18025904
	v_pk_mul_f32 v[6:7], v[6:7], v[46:47]                      // 000000003A1C: D3B14006 18025D06
	v_pk_mul_f32 v[4:5], v[4:5], s[60:61]                      // 000000003A24: D3B14004 18007904
	v_pk_mul_f32 v[6:7], v[6:7], s[60:61]                      // 000000003A2C: D3B14006 18007906
	v_exp_f32_e32 v4, v4                                       // 000000003A34: 7E084104
	v_exp_f32_e32 v5, v5                                       // 000000003A38: 7E0A4105
	v_exp_f32_e32 v6, v6                                       // 000000003A3C: 7E0C4106
	v_exp_f32_e32 v7, v7                                       // 000000003A40: 7E0E4107
	v_add_f32_e64 v4, v4, 1.0                                  // 000000003A44: D1010004 0001E504
	v_add_f32_e64 v5, v5, 1.0                                  // 000000003A4C: D1010005 0001E505
	v_add_f32_e64 v6, v6, 1.0                                  // 000000003A54: D1010006 0001E506
	v_add_f32_e64 v7, v7, 1.0                                  // 000000003A5C: D1010007 0001E507
	v_rcp_f32_e32 v4, v4                                       // 000000003A64: 7E084504
	v_rcp_f32_e32 v5, v5                                       // 000000003A68: 7E0A4505
	v_rcp_f32_e32 v6, v6                                       // 000000003A6C: 7E0C4506
	v_rcp_f32_e32 v7, v7                                       // 000000003A70: 7E0E4507
	v_mul_f32_e32 v44, v44, v4                                 // 000000003A74: 0A58092C
	v_mul_f32_e32 v45, v45, v5                                 // 000000003A78: 0A5A0B2D
	v_mul_f32_e32 v46, v46, v6                                 // 000000003A7C: 0A5C0D2E
	v_mul_f32_e32 v47, v47, v7                                 // 000000003A80: 0A5E0F2F
	v_mul_f32_e32 v44, v44, v52                                // 000000003A84: 0A58692C
	v_mul_f32_e32 v45, v45, v53                                // 000000003A88: 0A5A6B2D
	v_mul_f32_e32 v46, v46, v54                                // 000000003A8C: 0A5C6D2E
	v_mul_f32_e32 v47, v47, v55                                // 000000003A90: 0A5E6F2F
	v_pk_mul_f32 v[4:5], v[48:49], v[48:49]                    // 000000003A94: D3B14004 18026130
	v_pk_mul_f32 v[6:7], v[50:51], v[50:51]                    // 000000003A9C: D3B14006 18026532
	v_pk_fma_f32 v[4:5], v[4:5], s[78:79], v[8:9]              // 000000003AA4: D3B04004 1C209D04
	v_pk_fma_f32 v[6:7], v[6:7], s[78:79], v[8:9]              // 000000003AAC: D3B04006 1C209D06
	v_pk_mul_f32 v[4:5], v[4:5], v[48:49]                      // 000000003AB4: D3B14004 18026104
	v_pk_mul_f32 v[6:7], v[6:7], v[50:51]                      // 000000003ABC: D3B14006 18026506
	v_pk_mul_f32 v[4:5], v[4:5], s[60:61]                      // 000000003AC4: D3B14004 18007904
	v_pk_mul_f32 v[6:7], v[6:7], s[60:61]                      // 000000003ACC: D3B14006 18007906
	v_exp_f32_e32 v4, v4                                       // 000000003AD4: 7E084104
	v_exp_f32_e32 v5, v5                                       // 000000003AD8: 7E0A4105
	v_exp_f32_e32 v6, v6                                       // 000000003ADC: 7E0C4106
	v_exp_f32_e32 v7, v7                                       // 000000003AE0: 7E0E4107
	v_add_f32_e64 v4, v4, 1.0                                  // 000000003AE4: D1010004 0001E504
	v_add_f32_e64 v5, v5, 1.0                                  // 000000003AEC: D1010005 0001E505
	v_add_f32_e64 v6, v6, 1.0                                  // 000000003AF4: D1010006 0001E506
	v_add_f32_e64 v7, v7, 1.0                                  // 000000003AFC: D1010007 0001E507
	v_rcp_f32_e32 v4, v4                                       // 000000003B04: 7E084504
	v_rcp_f32_e32 v5, v5                                       // 000000003B08: 7E0A4505
	v_rcp_f32_e32 v6, v6                                       // 000000003B0C: 7E0C4506
	v_rcp_f32_e32 v7, v7                                       // 000000003B10: 7E0E4507
	v_mul_f32_e32 v48, v48, v4                                 // 000000003B14: 0A600930
	v_mul_f32_e32 v49, v49, v5                                 // 000000003B18: 0A620B31
	v_mul_f32_e32 v50, v50, v6                                 // 000000003B1C: 0A640D32
	v_mul_f32_e32 v51, v51, v7                                 // 000000003B20: 0A660F33
	v_mul_f32_e32 v48, v48, v56                                // 000000003B24: 0A607130
	v_mul_f32_e32 v49, v49, v57                                // 000000003B28: 0A627331
	v_mul_f32_e32 v50, v50, v58                                // 000000003B2C: 0A647532
	v_mul_f32_e32 v51, v51, v59                                // 000000003B30: 0A667733
	s_branch label_048E                                        // 000000003B34: BF820040

0000000000003b38 <label_044E>:
	v_mul_f32_e64 v4, -v44, s6                                 // 000000003B38: D1050004 20000D2C
	v_mul_f32_e64 v5, -v45, s6                                 // 000000003B40: D1050005 20000D2D
	v_mul_f32_e64 v6, -v46, s6                                 // 000000003B48: D1050006 20000D2E
	v_mul_f32_e64 v7, -v47, s6                                 // 000000003B50: D1050007 20000D2F
	v_exp_f32_e32 v4, v4                                       // 000000003B58: 7E084104
	v_exp_f32_e32 v5, v5                                       // 000000003B5C: 7E0A4105
	v_exp_f32_e32 v6, v6                                       // 000000003B60: 7E0C4106
	v_exp_f32_e32 v7, v7                                       // 000000003B64: 7E0E4107
	v_add_f32_e64 v4, v4, 1.0                                  // 000000003B68: D1010004 0001E504
	v_add_f32_e64 v5, v5, 1.0                                  // 000000003B70: D1010005 0001E505
	v_add_f32_e64 v6, v6, 1.0                                  // 000000003B78: D1010006 0001E506
	v_add_f32_e64 v7, v7, 1.0                                  // 000000003B80: D1010007 0001E507
	v_rcp_f32_e32 v4, v4                                       // 000000003B88: 7E084504
	v_rcp_f32_e32 v5, v5                                       // 000000003B8C: 7E0A4505
	v_rcp_f32_e32 v6, v6                                       // 000000003B90: 7E0C4506
	v_rcp_f32_e32 v7, v7                                       // 000000003B94: 7E0E4507
	v_mul_f32_e32 v44, v44, v4                                 // 000000003B98: 0A58092C
	v_mul_f32_e32 v45, v45, v5                                 // 000000003B9C: 0A5A0B2D
	v_mul_f32_e32 v46, v46, v6                                 // 000000003BA0: 0A5C0D2E
	v_mul_f32_e32 v47, v47, v7                                 // 000000003BA4: 0A5E0F2F
	v_mul_f32_e32 v44, v44, v52                                // 000000003BA8: 0A58692C
	v_mul_f32_e32 v45, v45, v53                                // 000000003BAC: 0A5A6B2D
	v_mul_f32_e32 v46, v46, v54                                // 000000003BB0: 0A5C6D2E
	v_mul_f32_e32 v47, v47, v55                                // 000000003BB4: 0A5E6F2F
	v_mul_f32_e64 v4, -v48, s6                                 // 000000003BB8: D1050004 20000D30
	v_mul_f32_e64 v5, -v49, s6                                 // 000000003BC0: D1050005 20000D31
	v_mul_f32_e64 v6, -v50, s6                                 // 000000003BC8: D1050006 20000D32
	v_mul_f32_e64 v7, -v51, s6                                 // 000000003BD0: D1050007 20000D33
	v_exp_f32_e32 v4, v4                                       // 000000003BD8: 7E084104
	v_exp_f32_e32 v5, v5                                       // 000000003BDC: 7E0A4105
	v_exp_f32_e32 v6, v6                                       // 000000003BE0: 7E0C4106
	v_exp_f32_e32 v7, v7                                       // 000000003BE4: 7E0E4107
	v_add_f32_e64 v4, v4, 1.0                                  // 000000003BE8: D1010004 0001E504
	v_add_f32_e64 v5, v5, 1.0                                  // 000000003BF0: D1010005 0001E505
	v_add_f32_e64 v6, v6, 1.0                                  // 000000003BF8: D1010006 0001E506
	v_add_f32_e64 v7, v7, 1.0                                  // 000000003C00: D1010007 0001E507
	v_rcp_f32_e32 v4, v4                                       // 000000003C08: 7E084504
	v_rcp_f32_e32 v5, v5                                       // 000000003C0C: 7E0A4505
	v_rcp_f32_e32 v6, v6                                       // 000000003C10: 7E0C4506
	v_rcp_f32_e32 v7, v7                                       // 000000003C14: 7E0E4507
	v_mul_f32_e32 v48, v48, v4                                 // 000000003C18: 0A600930
	v_mul_f32_e32 v49, v49, v5                                 // 000000003C1C: 0A620B31
	v_mul_f32_e32 v50, v50, v6                                 // 000000003C20: 0A640D32
	v_mul_f32_e32 v51, v51, v7                                 // 000000003C24: 0A660F33
	v_mul_f32_e32 v48, v48, v56                                // 000000003C28: 0A607130
	v_mul_f32_e32 v49, v49, v57                                // 000000003C2C: 0A627331
	v_mul_f32_e32 v50, v50, v58                                // 000000003C30: 0A647532
	v_mul_f32_e32 v51, v51, v59                                // 000000003C34: 0A667733

0000000000003c38 <label_048E>:
	v_cmp_u_f32_e64 s[46:47], v44, v44                         // 000000003C38: D048002E 0002592C
	v_add3_u32 v16, v44, v19, 1                                // 000000003C40: D1FF0010 0206272C
	v_cndmask_b32_e64 v4, v16, v18, s[46:47]                   // 000000003C48: D1000004 00BA2510
	v_cmp_u_f32_e64 s[46:47], v45, v45                         // 000000003C50: D048002E 00025B2D
	v_add3_u32 v16, v45, v19, 1                                // 000000003C58: D1FF0010 0206272D
	v_cndmask_b32_e64 v5, v16, v18, s[46:47]                   // 000000003C60: D1000005 00BA2510
	v_perm_b32 v44, v5, v4, s52                                // 000000003C68: D1ED002C 00D20905
	v_cmp_u_f32_e64 s[46:47], v46, v46                         // 000000003C70: D048002E 00025D2E
	v_add3_u32 v16, v46, v19, 1                                // 000000003C78: D1FF0010 0206272E
	v_cndmask_b32_e64 v4, v16, v18, s[46:47]                   // 000000003C80: D1000004 00BA2510
	v_cmp_u_f32_e64 s[46:47], v47, v47                         // 000000003C88: D048002E 00025F2F
	v_add3_u32 v16, v47, v19, 1                                // 000000003C90: D1FF0010 0206272F
	v_cndmask_b32_e64 v5, v16, v18, s[46:47]                   // 000000003C98: D1000005 00BA2510
	v_perm_b32 v45, v5, v4, s52                                // 000000003CA0: D1ED002D 00D20905
	v_cmp_u_f32_e64 s[46:47], v48, v48                         // 000000003CA8: D048002E 00026130
	v_add3_u32 v16, v48, v19, 1                                // 000000003CB0: D1FF0010 02062730
	v_cndmask_b32_e64 v4, v16, v18, s[46:47]                   // 000000003CB8: D1000004 00BA2510
	v_cmp_u_f32_e64 s[46:47], v49, v49                         // 000000003CC0: D048002E 00026331
	v_add3_u32 v16, v49, v19, 1                                // 000000003CC8: D1FF0010 02062731
	v_cndmask_b32_e64 v5, v16, v18, s[46:47]                   // 000000003CD0: D1000005 00BA2510
	v_perm_b32 v46, v5, v4, s52                                // 000000003CD8: D1ED002E 00D20905
	v_cmp_u_f32_e64 s[46:47], v50, v50                         // 000000003CE0: D048002E 00026532
	v_add3_u32 v16, v50, v19, 1                                // 000000003CE8: D1FF0010 02062732
	v_cndmask_b32_e64 v4, v16, v18, s[46:47]                   // 000000003CF0: D1000004 00BA2510
	v_cmp_u_f32_e64 s[46:47], v51, v51                         // 000000003CF8: D048002E 00026733
	v_add3_u32 v16, v51, v19, 1                                // 000000003D00: D1FF0010 02062733
	v_cndmask_b32_e64 v5, v16, v18, s[46:47]                   // 000000003D08: D1000005 00BA2510
	v_perm_b32 v47, v5, v4, s52                                // 000000003D10: D1ED002F 00D20905
	ds_write_b64 v20, v[44:45]                                 // 000000003D18: D89A0000 00002C14
	ds_write_b64 v20, v[46:47] offset:2176                     // 000000003D20: D89A0880 00002E14
	v_lshrrev_b32_e32 v4, 5, v0                                // 000000003D28: 20080085
	v_xor_b32_e32 v5, 1, v4                                    // 000000003D2C: 2A0A0881
	s_mul_i32 s60, s65, 2                                      // 000000003D30: 923C8241
	s_cmp_eq_u32 s88, 0                                        // 000000003D34: BF068058
	s_cselect_b32 s61, 1, 4                                    // 000000003D38: 853D8481
	s_mul_i32 s60, s61, s60                                    // 000000003D3C: 923C3C3D
	v_readlane_b32 s82, v3, 0                                  // 000000003D40: D2890052 00010103
	s_lshr_b32 s61, s82, 24                                    // 000000003D48: 8F3D9852
	s_and_b32 s82, s82, 0xffffff                               // 000000003D4C: 8652FF52 00FFFFFF
	s_mul_i32 s82, s82, s71                                    // 000000003D54: 92524752
	s_mul_i32 s61, s60, s61                                    // 000000003D58: 923D3D3C
	s_add_u32 s82, s82, s61                                    // 000000003D5C: 80523D52
	v_mul_lo_u32 v6, v5, s82                                   // 000000003D60: D2850006 0000A505
	v_readlane_b32 s82, v3, 1                                  // 000000003D68: D2890052 00010303
	s_lshr_b32 s61, s82, 24                                    // 000000003D70: 8F3D9852
	s_and_b32 s82, s82, 0xffffff                               // 000000003D74: 8652FF52 00FFFFFF
	s_mul_i32 s82, s82, s71                                    // 000000003D7C: 92524752
	s_mul_i32 s61, s60, s61                                    // 000000003D80: 923D3D3C
	s_add_u32 s82, s82, s61                                    // 000000003D84: 80523D52
	v_mul_lo_u32 v7, v4, s82                                   // 000000003D88: D2850007 0000A504
	v_add_u32_e32 v38, v6, v7                                  // 000000003D90: 684C0F06
	v_readlane_b32 s82, v3, 2                                  // 000000003D94: D2890052 00010503
	s_lshr_b32 s61, s82, 24                                    // 000000003D9C: 8F3D9852
	s_and_b32 s82, s82, 0xffffff                               // 000000003DA0: 8652FF52 00FFFFFF
	s_mul_i32 s82, s82, s71                                    // 000000003DA8: 92524752
	s_mul_i32 s61, s60, s61                                    // 000000003DAC: 923D3D3C
	s_add_u32 s82, s82, s61                                    // 000000003DB0: 80523D52
	v_mul_lo_u32 v6, v5, s82                                   // 000000003DB4: D2850006 0000A505
	v_readlane_b32 s82, v3, 3                                  // 000000003DBC: D2890052 00010703
	s_lshr_b32 s61, s82, 24                                    // 000000003DC4: 8F3D9852
	s_and_b32 s82, s82, 0xffffff                               // 000000003DC8: 8652FF52 00FFFFFF
	s_mul_i32 s82, s82, s71                                    // 000000003DD0: 92524752
	s_mul_i32 s61, s60, s61                                    // 000000003DD4: 923D3D3C
	s_add_u32 s82, s82, s61                                    // 000000003DD8: 80523D52
	v_mul_lo_u32 v7, v4, s82                                   // 000000003DDC: D2850007 0000A504
	v_add_u32_e32 v39, v6, v7                                  // 000000003DE4: 684E0F06
	v_readlane_b32 s82, v3, 4                                  // 000000003DE8: D2890052 00010903
	s_lshr_b32 s61, s82, 24                                    // 000000003DF0: 8F3D9852
	s_and_b32 s82, s82, 0xffffff                               // 000000003DF4: 8652FF52 00FFFFFF
	s_mul_i32 s82, s82, s71                                    // 000000003DFC: 92524752
	s_mul_i32 s61, s60, s61                                    // 000000003E00: 923D3D3C
	s_add_u32 s82, s82, s61                                    // 000000003E04: 80523D52
	v_mul_lo_u32 v6, v5, s82                                   // 000000003E08: D2850006 0000A505
	v_readlane_b32 s82, v3, 5                                  // 000000003E10: D2890052 00010B03
	s_lshr_b32 s61, s82, 24                                    // 000000003E18: 8F3D9852
	s_and_b32 s82, s82, 0xffffff                               // 000000003E1C: 8652FF52 00FFFFFF
	s_mul_i32 s82, s82, s71                                    // 000000003E24: 92524752
	s_mul_i32 s61, s60, s61                                    // 000000003E28: 923D3D3C
	s_add_u32 s82, s82, s61                                    // 000000003E2C: 80523D52
	v_mul_lo_u32 v7, v4, s82                                   // 000000003E30: D2850007 0000A504
	v_add_u32_e32 v40, v6, v7                                  // 000000003E38: 68500F06
	v_readlane_b32 s82, v3, 6                                  // 000000003E3C: D2890052 00010D03
	s_lshr_b32 s61, s82, 24                                    // 000000003E44: 8F3D9852
	s_and_b32 s82, s82, 0xffffff                               // 000000003E48: 8652FF52 00FFFFFF
	s_mul_i32 s82, s82, s71                                    // 000000003E50: 92524752
	s_mul_i32 s61, s60, s61                                    // 000000003E54: 923D3D3C
	s_add_u32 s82, s82, s61                                    // 000000003E58: 80523D52
	v_mul_lo_u32 v6, v5, s82                                   // 000000003E5C: D2850006 0000A505
	v_readlane_b32 s82, v3, 7                                  // 000000003E64: D2890052 00010F03
	s_lshr_b32 s61, s82, 24                                    // 000000003E6C: 8F3D9852
	s_and_b32 s82, s82, 0xffffff                               // 000000003E70: 8652FF52 00FFFFFF
	s_mul_i32 s82, s82, s71                                    // 000000003E78: 92524752
	s_mul_i32 s61, s60, s61                                    // 000000003E7C: 923D3D3C
	s_add_u32 s82, s82, s61                                    // 000000003E80: 80523D52
	v_mul_lo_u32 v7, v4, s82                                   // 000000003E84: D2850007 0000A504
	v_add_u32_e32 v41, v6, v7                                  // 000000003E8C: 68520F06
	v_and_b32_e32 v4, 31, v0                                   // 000000003E90: 2608009F
	v_lshrrev_b32_e32 v4, 1, v4                                // 000000003E94: 20080881
	s_cmp_eq_u32 s88, 0                                        // 000000003E98: BF068058
	s_cselect_b32 s61, 2, 4                                    // 000000003E9C: 853D8482
	v_mul_lo_u32 v4, v4, s61                                   // 000000003EA0: D2850004 00007B04
	v_and_b32_e64 v5, v0, 1                                    // 000000003EA8: D1130005 00010300
	v_add_u32_e32 v4, v4, v5                                   // 000000003EB0: 68080B04
	v_lshlrev_b32_e32 v4, 2, v4                                // 000000003EB4: 24080882
	v_add_u32_e32 v38, v38, v4                                 // 000000003EB8: 684C0926
	v_add_u32_e32 v39, v39, v4                                 // 000000003EBC: 684E0927
	v_add_u32_e32 v40, v40, v4                                 // 000000003EC0: 68500928
	v_add_u32_e32 v41, v41, v4                                 // 000000003EC4: 68520929
	s_waitcnt lgkmcnt(0)                                       // 000000003EC8: BF8CC07F
	s_barrier                                                  // 000000003ECC: BF8A0000
	ds_read_b32 v44, v21                                       // 000000003ED0: D86C0000 2C000015
	ds_read_b32 v45, v21 offset:64                             // 000000003ED8: D86C0040 2D000015
	ds_read_b32 v46, v21 offset:2176                           // 000000003EE0: D86C0880 2E000015
	ds_read_b32 v47, v21 offset:2240                           // 000000003EE8: D86C08C0 2F000015
	s_waitcnt lgkmcnt(0)                                       // 000000003EF0: BF8CC07F
	s_mov_b32 s36, -1                                          // 000000003EF4: BEA400C1
	s_mov_b32 s37, -1                                          // 000000003EF8: BEA500C1
	v_mov_b32_e32 v7, 0                                        // 000000003EFC: 7E0E0280
	s_or_b32 s9, s9, 0x40000                                   // 000000003F00: 8709FF09 00040000
	s_mov_b64 exec, s[36:37]                                   // 000000003F08: BEFE0124
	v_mov_b32_e32 v6, v38                                      // 000000003F0C: 7E0C0326
	s_mov_b64 s[60:61], 0                                      // 000000003F10: BEBC0180
	v_readlane_b32 s82, v3, 0                                  // 000000003F14: D2890052 00010103
	s_and_b32 s82, s82, 0xffffff                               // 000000003F1C: 8652FF52 00FFFFFF
	s_cmp_lt_u32 s82, s66                                      // 000000003F24: BF0A4252
	s_cselect_b32 s20, s36, s60                                // 000000003F28: 85143C24
	v_readlane_b32 s82, v3, 1                                  // 000000003F2C: D2890052 00010303
	s_and_b32 s82, s82, 0xffffff                               // 000000003F34: 8652FF52 00FFFFFF
	s_cmp_lt_u32 s82, s66                                      // 000000003F3C: BF0A4252
	s_cselect_b32 s21, s36, s60                                // 000000003F40: 85153C24
	s_mov_b64 exec, s[20:21]                                   // 000000003F44: BEFE0114
	buffer_store_dword v44, v6, s[8:11], 0 offen               // 000000003F48: E0701000 80022C06
	s_mov_b64 exec, s[36:37]                                   // 000000003F50: BEFE0124
	v_mov_b32_e32 v6, v39                                      // 000000003F54: 7E0C0327
	s_mov_b64 s[60:61], 0                                      // 000000003F58: BEBC0180
	v_readlane_b32 s82, v3, 2                                  // 000000003F5C: D2890052 00010503
	s_and_b32 s82, s82, 0xffffff                               // 000000003F64: 8652FF52 00FFFFFF
	s_cmp_lt_u32 s82, s66                                      // 000000003F6C: BF0A4252
	s_cselect_b32 s20, s36, s60                                // 000000003F70: 85143C24
	v_readlane_b32 s82, v3, 3                                  // 000000003F74: D2890052 00010703
	s_and_b32 s82, s82, 0xffffff                               // 000000003F7C: 8652FF52 00FFFFFF
	s_cmp_lt_u32 s82, s66                                      // 000000003F84: BF0A4252
	s_cselect_b32 s21, s36, s60                                // 000000003F88: 85153C24
	s_mov_b64 exec, s[20:21]                                   // 000000003F8C: BEFE0114
	buffer_store_dword v45, v6, s[8:11], 0 offen               // 000000003F90: E0701000 80022D06
	s_mov_b64 exec, s[36:37]                                   // 000000003F98: BEFE0124
	v_mov_b32_e32 v6, v40                                      // 000000003F9C: 7E0C0328
	s_mov_b64 s[60:61], 0                                      // 000000003FA0: BEBC0180
	v_readlane_b32 s82, v3, 4                                  // 000000003FA4: D2890052 00010903
	s_and_b32 s82, s82, 0xffffff                               // 000000003FAC: 8652FF52 00FFFFFF
	s_cmp_lt_u32 s82, s66                                      // 000000003FB4: BF0A4252
	s_cselect_b32 s20, s36, s60                                // 000000003FB8: 85143C24
	v_readlane_b32 s82, v3, 5                                  // 000000003FBC: D2890052 00010B03
	s_and_b32 s82, s82, 0xffffff                               // 000000003FC4: 8652FF52 00FFFFFF
	s_cmp_lt_u32 s82, s66                                      // 000000003FCC: BF0A4252
	s_cselect_b32 s21, s36, s60                                // 000000003FD0: 85153C24
	s_mov_b64 exec, s[20:21]                                   // 000000003FD4: BEFE0114
	buffer_store_dword v46, v6, s[8:11], 0 offen               // 000000003FD8: E0701000 80022E06
	s_mov_b64 exec, s[36:37]                                   // 000000003FE0: BEFE0124
	v_mov_b32_e32 v6, v41                                      // 000000003FE4: 7E0C0329
	s_mov_b64 s[60:61], 0                                      // 000000003FE8: BEBC0180
	v_readlane_b32 s82, v3, 6                                  // 000000003FEC: D2890052 00010D03
	s_and_b32 s82, s82, 0xffffff                               // 000000003FF4: 8652FF52 00FFFFFF
	s_cmp_lt_u32 s82, s66                                      // 000000003FFC: BF0A4252
	s_cselect_b32 s20, s36, s60                                // 000000004000: 85143C24
	v_readlane_b32 s82, v3, 7                                  // 000000004004: D2890052 00010F03
	s_and_b32 s82, s82, 0xffffff                               // 00000000400C: 8652FF52 00FFFFFF
	s_cmp_lt_u32 s82, s66                                      // 000000004014: BF0A4252
	s_cselect_b32 s21, s36, s60                                // 000000004018: 85153C24
	s_mov_b64 exec, s[20:21]                                   // 00000000401C: BEFE0114
	buffer_store_dword v47, v6, s[8:11], 0 offen               // 000000004020: E0701000 80022F06
	s_mov_b64 exec, s[36:37]                                   // 000000004028: BEFE0124
	s_branch label_0D09                                        // 00000000402C: BF82077A

0000000000004030 <label_058C>:
	ds_write_b64 v20, v[44:45]                                 // 000000004030: D89A0000 00002C14
	ds_write_b64 v20, v[48:49] offset:2176                     // 000000004038: D89A0880 00003014
	v_lshrrev_b32_e32 v4, 5, v0                                // 000000004040: 20080085
	v_xor_b32_e32 v5, 1, v4                                    // 000000004044: 2A0A0881
	s_mul_i32 s60, s65, 2                                      // 000000004048: 923C8241
	s_cmp_eq_u32 s88, 0                                        // 00000000404C: BF068058
	s_cselect_b32 s61, 1, 4                                    // 000000004050: 853D8481
	s_mul_i32 s60, s61, s60                                    // 000000004054: 923C3C3D
	v_readlane_b32 s82, v3, 0                                  // 000000004058: D2890052 00010103
	s_lshr_b32 s61, s82, 24                                    // 000000004060: 8F3D9852
	s_and_b32 s82, s82, 0xffffff                               // 000000004064: 8652FF52 00FFFFFF
	s_mul_i32 s82, s82, s71                                    // 00000000406C: 92524752
	s_mul_i32 s61, s60, s61                                    // 000000004070: 923D3D3C
	s_add_u32 s82, s82, s61                                    // 000000004074: 80523D52
	v_mul_lo_u32 v6, v5, s82                                   // 000000004078: D2850006 0000A505
	v_readlane_b32 s82, v3, 1                                  // 000000004080: D2890052 00010303
	s_lshr_b32 s61, s82, 24                                    // 000000004088: 8F3D9852
	s_and_b32 s82, s82, 0xffffff                               // 00000000408C: 8652FF52 00FFFFFF
	s_mul_i32 s82, s82, s71                                    // 000000004094: 92524752
	s_mul_i32 s61, s60, s61                                    // 000000004098: 923D3D3C
	s_add_u32 s82, s82, s61                                    // 00000000409C: 80523D52
	v_mul_lo_u32 v7, v4, s82                                   // 0000000040A0: D2850007 0000A504
	v_add_u32_e32 v38, v6, v7                                  // 0000000040A8: 684C0F06
	v_readlane_b32 s82, v3, 2                                  // 0000000040AC: D2890052 00010503
	s_lshr_b32 s61, s82, 24                                    // 0000000040B4: 8F3D9852
	s_and_b32 s82, s82, 0xffffff                               // 0000000040B8: 8652FF52 00FFFFFF
	s_mul_i32 s82, s82, s71                                    // 0000000040C0: 92524752
	s_mul_i32 s61, s60, s61                                    // 0000000040C4: 923D3D3C
	s_add_u32 s82, s82, s61                                    // 0000000040C8: 80523D52
	v_mul_lo_u32 v6, v5, s82                                   // 0000000040CC: D2850006 0000A505
	v_readlane_b32 s82, v3, 3                                  // 0000000040D4: D2890052 00010703
	s_lshr_b32 s61, s82, 24                                    // 0000000040DC: 8F3D9852
	s_and_b32 s82, s82, 0xffffff                               // 0000000040E0: 8652FF52 00FFFFFF
	s_mul_i32 s82, s82, s71                                    // 0000000040E8: 92524752
	s_mul_i32 s61, s60, s61                                    // 0000000040EC: 923D3D3C
	s_add_u32 s82, s82, s61                                    // 0000000040F0: 80523D52
	v_mul_lo_u32 v7, v4, s82                                   // 0000000040F4: D2850007 0000A504
	v_add_u32_e32 v39, v6, v7                                  // 0000000040FC: 684E0F06
	v_readlane_b32 s82, v3, 4                                  // 000000004100: D2890052 00010903
	s_lshr_b32 s61, s82, 24                                    // 000000004108: 8F3D9852
	s_and_b32 s82, s82, 0xffffff                               // 00000000410C: 8652FF52 00FFFFFF
	s_mul_i32 s82, s82, s71                                    // 000000004114: 92524752
	s_mul_i32 s61, s60, s61                                    // 000000004118: 923D3D3C
	s_add_u32 s82, s82, s61                                    // 00000000411C: 80523D52
	v_mul_lo_u32 v6, v5, s82                                   // 000000004120: D2850006 0000A505
	v_readlane_b32 s82, v3, 5                                  // 000000004128: D2890052 00010B03
	s_lshr_b32 s61, s82, 24                                    // 000000004130: 8F3D9852
	s_and_b32 s82, s82, 0xffffff                               // 000000004134: 8652FF52 00FFFFFF
	s_mul_i32 s82, s82, s71                                    // 00000000413C: 92524752
	s_mul_i32 s61, s60, s61                                    // 000000004140: 923D3D3C
	s_add_u32 s82, s82, s61                                    // 000000004144: 80523D52
	v_mul_lo_u32 v7, v4, s82                                   // 000000004148: D2850007 0000A504
	v_add_u32_e32 v40, v6, v7                                  // 000000004150: 68500F06
	v_readlane_b32 s82, v3, 6                                  // 000000004154: D2890052 00010D03
	s_lshr_b32 s61, s82, 24                                    // 00000000415C: 8F3D9852
	s_and_b32 s82, s82, 0xffffff                               // 000000004160: 8652FF52 00FFFFFF
	s_mul_i32 s82, s82, s71                                    // 000000004168: 92524752
	s_mul_i32 s61, s60, s61                                    // 00000000416C: 923D3D3C
	s_add_u32 s82, s82, s61                                    // 000000004170: 80523D52
	v_mul_lo_u32 v6, v5, s82                                   // 000000004174: D2850006 0000A505
	v_readlane_b32 s82, v3, 7                                  // 00000000417C: D2890052 00010F03
	s_lshr_b32 s61, s82, 24                                    // 000000004184: 8F3D9852
	s_and_b32 s82, s82, 0xffffff                               // 000000004188: 8652FF52 00FFFFFF
	s_mul_i32 s82, s82, s71                                    // 000000004190: 92524752
	s_mul_i32 s61, s60, s61                                    // 000000004194: 923D3D3C
	s_add_u32 s82, s82, s61                                    // 000000004198: 80523D52
	v_mul_lo_u32 v7, v4, s82                                   // 00000000419C: D2850007 0000A504
	v_add_u32_e32 v41, v6, v7                                  // 0000000041A4: 68520F06
	v_and_b32_e32 v4, 31, v0                                   // 0000000041A8: 2608009F
	v_lshrrev_b32_e32 v4, 1, v4                                // 0000000041AC: 20080881
	s_cmp_eq_u32 s88, 0                                        // 0000000041B0: BF068058
	s_cselect_b32 s61, 2, 4                                    // 0000000041B4: 853D8482
	v_mul_lo_u32 v4, v4, s61                                   // 0000000041B8: D2850004 00007B04
	v_and_b32_e64 v5, v0, 1                                    // 0000000041C0: D1130005 00010300
	v_add_u32_e32 v4, v4, v5                                   // 0000000041C8: 68080B04
	v_lshlrev_b32_e32 v4, 2, v4                                // 0000000041CC: 24080882
	v_add_u32_e32 v38, v38, v4                                 // 0000000041D0: 684C0926
	v_add_u32_e32 v39, v39, v4                                 // 0000000041D4: 684E0927
	v_add_u32_e32 v40, v40, v4                                 // 0000000041D8: 68500928
	v_add_u32_e32 v41, v41, v4                                 // 0000000041DC: 68520929
	s_waitcnt lgkmcnt(0)                                       // 0000000041E0: BF8CC07F
	s_barrier                                                  // 0000000041E4: BF8A0000
	ds_read_b32 v44, v21                                       // 0000000041E8: D86C0000 2C000015
	ds_read_b32 v45, v21 offset:64                             // 0000000041F0: D86C0040 2D000015
	ds_read_b32 v48, v21 offset:2176                           // 0000000041F8: D86C0880 30000015
	ds_read_b32 v49, v21 offset:2240                           // 000000004200: D86C08C0 31000015
	s_waitcnt lgkmcnt(0)                                       // 000000004208: BF8CC07F
	s_mov_b32 s36, -1                                          // 00000000420C: BEA400C1
	s_mov_b32 s37, -1                                          // 000000004210: BEA500C1
	v_mov_b32_e32 v7, 0                                        // 000000004214: 7E0E0280
	s_mov_b64 exec, s[36:37]                                   // 000000004218: BEFE0124
	v_mov_b32_e32 v6, v38                                      // 00000000421C: 7E0C0326
	s_mov_b64 s[60:61], 0                                      // 000000004220: BEBC0180
	v_readlane_b32 s82, v3, 0                                  // 000000004224: D2890052 00010103
	s_and_b32 s82, s82, 0xffffff                               // 00000000422C: 8652FF52 00FFFFFF
	s_cmp_lt_u32 s82, s66                                      // 000000004234: BF0A4252
	s_cselect_b32 s20, s36, s60                                // 000000004238: 85143C24
	v_readlane_b32 s82, v3, 1                                  // 00000000423C: D2890052 00010303
	s_and_b32 s82, s82, 0xffffff                               // 000000004244: 8652FF52 00FFFFFF
	s_cmp_lt_u32 s82, s66                                      // 00000000424C: BF0A4252
	s_cselect_b32 s21, s36, s60                                // 000000004250: 85153C24
	s_mov_b64 exec, s[20:21]                                   // 000000004254: BEFE0114
	global_atomic_add_f32 v6, v44, s[8:9]                      // 000000004258: DD348000 00082C06
	s_mov_b64 exec, s[36:37]                                   // 000000004260: BEFE0124
	v_mov_b32_e32 v6, v39                                      // 000000004264: 7E0C0327
	s_mov_b64 s[60:61], 0                                      // 000000004268: BEBC0180
	v_readlane_b32 s82, v3, 2                                  // 00000000426C: D2890052 00010503
	s_and_b32 s82, s82, 0xffffff                               // 000000004274: 8652FF52 00FFFFFF
	s_cmp_lt_u32 s82, s66                                      // 00000000427C: BF0A4252
	s_cselect_b32 s20, s36, s60                                // 000000004280: 85143C24
	v_readlane_b32 s82, v3, 3                                  // 000000004284: D2890052 00010703
	s_and_b32 s82, s82, 0xffffff                               // 00000000428C: 8652FF52 00FFFFFF
	s_cmp_lt_u32 s82, s66                                      // 000000004294: BF0A4252
	s_cselect_b32 s21, s36, s60                                // 000000004298: 85153C24
	s_mov_b64 exec, s[20:21]                                   // 00000000429C: BEFE0114
	global_atomic_add_f32 v6, v45, s[8:9]                      // 0000000042A0: DD348000 00082D06
	s_mov_b64 exec, s[36:37]                                   // 0000000042A8: BEFE0124
	v_mov_b32_e32 v6, v40                                      // 0000000042AC: 7E0C0328
	s_mov_b64 s[60:61], 0                                      // 0000000042B0: BEBC0180
	v_readlane_b32 s82, v3, 4                                  // 0000000042B4: D2890052 00010903
	s_and_b32 s82, s82, 0xffffff                               // 0000000042BC: 8652FF52 00FFFFFF
	s_cmp_lt_u32 s82, s66                                      // 0000000042C4: BF0A4252
	s_cselect_b32 s20, s36, s60                                // 0000000042C8: 85143C24
	v_readlane_b32 s82, v3, 5                                  // 0000000042CC: D2890052 00010B03
	s_and_b32 s82, s82, 0xffffff                               // 0000000042D4: 8652FF52 00FFFFFF
	s_cmp_lt_u32 s82, s66                                      // 0000000042DC: BF0A4252
	s_cselect_b32 s21, s36, s60                                // 0000000042E0: 85153C24
	s_mov_b64 exec, s[20:21]                                   // 0000000042E4: BEFE0114
	global_atomic_add_f32 v6, v48, s[8:9]                      // 0000000042E8: DD348000 00083006
	s_mov_b64 exec, s[36:37]                                   // 0000000042F0: BEFE0124
	v_mov_b32_e32 v6, v41                                      // 0000000042F4: 7E0C0329
	s_mov_b64 s[60:61], 0                                      // 0000000042F8: BEBC0180
	v_readlane_b32 s82, v3, 6                                  // 0000000042FC: D2890052 00010D03
	s_and_b32 s82, s82, 0xffffff                               // 000000004304: 8652FF52 00FFFFFF
	s_cmp_lt_u32 s82, s66                                      // 00000000430C: BF0A4252
	s_cselect_b32 s20, s36, s60                                // 000000004310: 85143C24
	v_readlane_b32 s82, v3, 7                                  // 000000004314: D2890052 00010F03
	s_and_b32 s82, s82, 0xffffff                               // 00000000431C: 8652FF52 00FFFFFF
	s_cmp_lt_u32 s82, s66                                      // 000000004324: BF0A4252
	s_cselect_b32 s21, s36, s60                                // 000000004328: 85153C24
	s_mov_b64 exec, s[20:21]                                   // 00000000432C: BEFE0114
	global_atomic_add_f32 v6, v49, s[8:9]                      // 000000004330: DD348000 00083106
	s_mov_b64 exec, s[36:37]                                   // 000000004338: BEFE0124
	ds_write_b64 v20, v[46:47]                                 // 00000000433C: D89A0000 00002E14
	ds_write_b64 v20, v[50:51] offset:2176                     // 000000004344: D89A0880 00003214
	s_waitcnt lgkmcnt(0)                                       // 00000000434C: BF8CC07F
	s_barrier                                                  // 000000004350: BF8A0000
	ds_read_b32 v46, v21                                       // 000000004354: D86C0000 2E000015
	ds_read_b32 v47, v21 offset:64                             // 00000000435C: D86C0040 2F000015
	ds_read_b32 v50, v21 offset:2176                           // 000000004364: D86C0880 32000015
	ds_read_b32 v51, v21 offset:2240                           // 00000000436C: D86C08C0 33000015
	s_waitcnt lgkmcnt(0)                                       // 000000004374: BF8CC07F
	v_mov_b32_e32 v7, 0                                        // 000000004378: 7E0E0280
	s_mov_b64 exec, s[36:37]                                   // 00000000437C: BEFE0124
	v_mov_b32_e32 v6, v38                                      // 000000004380: 7E0C0326
	s_mov_b64 s[60:61], 0                                      // 000000004384: BEBC0180
	v_readlane_b32 s82, v3, 0                                  // 000000004388: D2890052 00010103
	s_and_b32 s82, s82, 0xffffff                               // 000000004390: 8652FF52 00FFFFFF
	s_cmp_lt_u32 s82, s66                                      // 000000004398: BF0A4252
	s_cselect_b32 s20, s36, s60                                // 00000000439C: 85143C24
	v_readlane_b32 s82, v3, 1                                  // 0000000043A0: D2890052 00010303
	s_and_b32 s82, s82, 0xffffff                               // 0000000043A8: 8652FF52 00FFFFFF
	s_cmp_lt_u32 s82, s66                                      // 0000000043B0: BF0A4252
	s_cselect_b32 s21, s36, s60                                // 0000000043B4: 85153C24
	s_mov_b64 exec, s[20:21]                                   // 0000000043B8: BEFE0114
	global_atomic_add_f32 v6, v46, s[8:9] offset:8             // 0000000043BC: DD348008 00082E06
	s_mov_b64 exec, s[36:37]                                   // 0000000043C4: BEFE0124
	v_mov_b32_e32 v6, v39                                      // 0000000043C8: 7E0C0327
	s_mov_b64 s[60:61], 0                                      // 0000000043CC: BEBC0180
	v_readlane_b32 s82, v3, 2                                  // 0000000043D0: D2890052 00010503
	s_and_b32 s82, s82, 0xffffff                               // 0000000043D8: 8652FF52 00FFFFFF
	s_cmp_lt_u32 s82, s66                                      // 0000000043E0: BF0A4252
	s_cselect_b32 s20, s36, s60                                // 0000000043E4: 85143C24
	v_readlane_b32 s82, v3, 3                                  // 0000000043E8: D2890052 00010703
	s_and_b32 s82, s82, 0xffffff                               // 0000000043F0: 8652FF52 00FFFFFF
	s_cmp_lt_u32 s82, s66                                      // 0000000043F8: BF0A4252
	s_cselect_b32 s21, s36, s60                                // 0000000043FC: 85153C24
	s_mov_b64 exec, s[20:21]                                   // 000000004400: BEFE0114
	global_atomic_add_f32 v6, v47, s[8:9] offset:8             // 000000004404: DD348008 00082F06
	s_mov_b64 exec, s[36:37]                                   // 00000000440C: BEFE0124
	v_mov_b32_e32 v6, v40                                      // 000000004410: 7E0C0328
	s_mov_b64 s[60:61], 0                                      // 000000004414: BEBC0180
	v_readlane_b32 s82, v3, 4                                  // 000000004418: D2890052 00010903
	s_and_b32 s82, s82, 0xffffff                               // 000000004420: 8652FF52 00FFFFFF
	s_cmp_lt_u32 s82, s66                                      // 000000004428: BF0A4252
	s_cselect_b32 s20, s36, s60                                // 00000000442C: 85143C24
	v_readlane_b32 s82, v3, 5                                  // 000000004430: D2890052 00010B03
	s_and_b32 s82, s82, 0xffffff                               // 000000004438: 8652FF52 00FFFFFF
	s_cmp_lt_u32 s82, s66                                      // 000000004440: BF0A4252
	s_cselect_b32 s21, s36, s60                                // 000000004444: 85153C24
	s_mov_b64 exec, s[20:21]                                   // 000000004448: BEFE0114
	global_atomic_add_f32 v6, v50, s[8:9] offset:8             // 00000000444C: DD348008 00083206
	s_mov_b64 exec, s[36:37]                                   // 000000004454: BEFE0124
	v_mov_b32_e32 v6, v41                                      // 000000004458: 7E0C0329
	s_mov_b64 s[60:61], 0                                      // 00000000445C: BEBC0180
	v_readlane_b32 s82, v3, 6                                  // 000000004460: D2890052 00010D03
	s_and_b32 s82, s82, 0xffffff                               // 000000004468: 8652FF52 00FFFFFF
	s_cmp_lt_u32 s82, s66                                      // 000000004470: BF0A4252
	s_cselect_b32 s20, s36, s60                                // 000000004474: 85143C24
	v_readlane_b32 s82, v3, 7                                  // 000000004478: D2890052 00010F03
	s_and_b32 s82, s82, 0xffffff                               // 000000004480: 8652FF52 00FFFFFF
	s_cmp_lt_u32 s82, s66                                      // 000000004488: BF0A4252
	s_cselect_b32 s21, s36, s60                                // 00000000448C: 85153C24
	s_mov_b64 exec, s[20:21]                                   // 000000004490: BEFE0114
	global_atomic_add_f32 v6, v51, s[8:9] offset:8             // 000000004494: DD348008 00083306
	s_mov_b64 exec, s[36:37]                                   // 00000000449C: BEFE0124
	ds_write_b64 v20, v[52:53]                                 // 0000000044A0: D89A0000 00003414
	ds_write_b64 v20, v[56:57] offset:2176                     // 0000000044A8: D89A0880 00003814
	s_waitcnt lgkmcnt(0)                                       // 0000000044B0: BF8CC07F
	s_barrier                                                  // 0000000044B4: BF8A0000
	ds_read_b32 v52, v21                                       // 0000000044B8: D86C0000 34000015
	ds_read_b32 v53, v21 offset:64                             // 0000000044C0: D86C0040 35000015
	ds_read_b32 v56, v21 offset:2176                           // 0000000044C8: D86C0880 38000015
	ds_read_b32 v57, v21 offset:2240                           // 0000000044D0: D86C08C0 39000015
	s_mul_i32 s60, s65, 4                                      // 0000000044D8: 923C8441
	s_add_u32 s8, s60, s8                                      // 0000000044DC: 8008083C
	s_addc_u32 s9, 0, s9                                       // 0000000044E0: 82090980
	s_waitcnt lgkmcnt(0)                                       // 0000000044E4: BF8CC07F
	v_mov_b32_e32 v7, 0                                        // 0000000044E8: 7E0E0280
	s_mov_b64 exec, s[36:37]                                   // 0000000044EC: BEFE0124
	v_mov_b32_e32 v6, v38                                      // 0000000044F0: 7E0C0326
	s_mov_b64 s[60:61], 0                                      // 0000000044F4: BEBC0180
	v_readlane_b32 s82, v3, 0                                  // 0000000044F8: D2890052 00010103
	s_and_b32 s82, s82, 0xffffff                               // 000000004500: 8652FF52 00FFFFFF
	s_cmp_lt_u32 s82, s66                                      // 000000004508: BF0A4252
	s_cselect_b32 s20, s36, s60                                // 00000000450C: 85143C24
	v_readlane_b32 s82, v3, 1                                  // 000000004510: D2890052 00010303
	s_and_b32 s82, s82, 0xffffff                               // 000000004518: 8652FF52 00FFFFFF
	s_cmp_lt_u32 s82, s66                                      // 000000004520: BF0A4252
	s_cselect_b32 s21, s36, s60                                // 000000004524: 85153C24
	s_mov_b64 exec, s[20:21]                                   // 000000004528: BEFE0114
	global_atomic_add_f32 v6, v52, s[8:9]                      // 00000000452C: DD348000 00083406
	s_mov_b64 exec, s[36:37]                                   // 000000004534: BEFE0124
	v_mov_b32_e32 v6, v39                                      // 000000004538: 7E0C0327
	s_mov_b64 s[60:61], 0                                      // 00000000453C: BEBC0180
	v_readlane_b32 s82, v3, 2                                  // 000000004540: D2890052 00010503
	s_and_b32 s82, s82, 0xffffff                               // 000000004548: 8652FF52 00FFFFFF
	s_cmp_lt_u32 s82, s66                                      // 000000004550: BF0A4252
	s_cselect_b32 s20, s36, s60                                // 000000004554: 85143C24
	v_readlane_b32 s82, v3, 3                                  // 000000004558: D2890052 00010703
	s_and_b32 s82, s82, 0xffffff                               // 000000004560: 8652FF52 00FFFFFF
	s_cmp_lt_u32 s82, s66                                      // 000000004568: BF0A4252
	s_cselect_b32 s21, s36, s60                                // 00000000456C: 85153C24
	s_mov_b64 exec, s[20:21]                                   // 000000004570: BEFE0114
	global_atomic_add_f32 v6, v53, s[8:9]                      // 000000004574: DD348000 00083506
	s_mov_b64 exec, s[36:37]                                   // 00000000457C: BEFE0124
	v_mov_b32_e32 v6, v40                                      // 000000004580: 7E0C0328
	s_mov_b64 s[60:61], 0                                      // 000000004584: BEBC0180
	v_readlane_b32 s82, v3, 4                                  // 000000004588: D2890052 00010903
	s_and_b32 s82, s82, 0xffffff                               // 000000004590: 8652FF52 00FFFFFF
	s_cmp_lt_u32 s82, s66                                      // 000000004598: BF0A4252
	s_cselect_b32 s20, s36, s60                                // 00000000459C: 85143C24
	v_readlane_b32 s82, v3, 5                                  // 0000000045A0: D2890052 00010B03
	s_and_b32 s82, s82, 0xffffff                               // 0000000045A8: 8652FF52 00FFFFFF
	s_cmp_lt_u32 s82, s66                                      // 0000000045B0: BF0A4252
	s_cselect_b32 s21, s36, s60                                // 0000000045B4: 85153C24
	s_mov_b64 exec, s[20:21]                                   // 0000000045B8: BEFE0114
	global_atomic_add_f32 v6, v56, s[8:9]                      // 0000000045BC: DD348000 00083806
	s_mov_b64 exec, s[36:37]                                   // 0000000045C4: BEFE0124
	v_mov_b32_e32 v6, v41                                      // 0000000045C8: 7E0C0329
	s_mov_b64 s[60:61], 0                                      // 0000000045CC: BEBC0180
	v_readlane_b32 s82, v3, 6                                  // 0000000045D0: D2890052 00010D03
	s_and_b32 s82, s82, 0xffffff                               // 0000000045D8: 8652FF52 00FFFFFF
	s_cmp_lt_u32 s82, s66                                      // 0000000045E0: BF0A4252
	s_cselect_b32 s20, s36, s60                                // 0000000045E4: 85143C24
	v_readlane_b32 s82, v3, 7                                  // 0000000045E8: D2890052 00010F03
	s_and_b32 s82, s82, 0xffffff                               // 0000000045F0: 8652FF52 00FFFFFF
	s_cmp_lt_u32 s82, s66                                      // 0000000045F8: BF0A4252
	s_cselect_b32 s21, s36, s60                                // 0000000045FC: 85153C24
	s_mov_b64 exec, s[20:21]                                   // 000000004600: BEFE0114
	global_atomic_add_f32 v6, v57, s[8:9]                      // 000000004604: DD348000 00083906
	s_mov_b64 exec, s[36:37]                                   // 00000000460C: BEFE0124
	ds_write_b64 v20, v[54:55]                                 // 000000004610: D89A0000 00003614
	ds_write_b64 v20, v[58:59] offset:2176                     // 000000004618: D89A0880 00003A14
	s_waitcnt lgkmcnt(0)                                       // 000000004620: BF8CC07F
	s_barrier                                                  // 000000004624: BF8A0000
	ds_read_b32 v54, v21                                       // 000000004628: D86C0000 36000015
	ds_read_b32 v55, v21 offset:64                             // 000000004630: D86C0040 37000015
	ds_read_b32 v58, v21 offset:2176                           // 000000004638: D86C0880 3A000015
	ds_read_b32 v59, v21 offset:2240                           // 000000004640: D86C08C0 3B000015
	s_waitcnt lgkmcnt(0)                                       // 000000004648: BF8CC07F
	v_mov_b32_e32 v7, 0                                        // 00000000464C: 7E0E0280
	s_mov_b64 exec, s[36:37]                                   // 000000004650: BEFE0124
	v_mov_b32_e32 v6, v38                                      // 000000004654: 7E0C0326
	s_mov_b64 s[60:61], 0                                      // 000000004658: BEBC0180
	v_readlane_b32 s82, v3, 0                                  // 00000000465C: D2890052 00010103
	s_and_b32 s82, s82, 0xffffff                               // 000000004664: 8652FF52 00FFFFFF
	s_cmp_lt_u32 s82, s66                                      // 00000000466C: BF0A4252
	s_cselect_b32 s20, s36, s60                                // 000000004670: 85143C24
	v_readlane_b32 s82, v3, 1                                  // 000000004674: D2890052 00010303
	s_and_b32 s82, s82, 0xffffff                               // 00000000467C: 8652FF52 00FFFFFF
	s_cmp_lt_u32 s82, s66                                      // 000000004684: BF0A4252
	s_cselect_b32 s21, s36, s60                                // 000000004688: 85153C24
	s_mov_b64 exec, s[20:21]                                   // 00000000468C: BEFE0114
	global_atomic_add_f32 v6, v54, s[8:9] offset:8             // 000000004690: DD348008 00083606
	s_mov_b64 exec, s[36:37]                                   // 000000004698: BEFE0124
	v_mov_b32_e32 v6, v39                                      // 00000000469C: 7E0C0327
	s_mov_b64 s[60:61], 0                                      // 0000000046A0: BEBC0180
	v_readlane_b32 s82, v3, 2                                  // 0000000046A4: D2890052 00010503
	s_and_b32 s82, s82, 0xffffff                               // 0000000046AC: 8652FF52 00FFFFFF
	s_cmp_lt_u32 s82, s66                                      // 0000000046B4: BF0A4252
	s_cselect_b32 s20, s36, s60                                // 0000000046B8: 85143C24
	v_readlane_b32 s82, v3, 3                                  // 0000000046BC: D2890052 00010703
	s_and_b32 s82, s82, 0xffffff                               // 0000000046C4: 8652FF52 00FFFFFF
	s_cmp_lt_u32 s82, s66                                      // 0000000046CC: BF0A4252
	s_cselect_b32 s21, s36, s60                                // 0000000046D0: 85153C24
	s_mov_b64 exec, s[20:21]                                   // 0000000046D4: BEFE0114
	global_atomic_add_f32 v6, v55, s[8:9] offset:8             // 0000000046D8: DD348008 00083706
	s_mov_b64 exec, s[36:37]                                   // 0000000046E0: BEFE0124
	v_mov_b32_e32 v6, v40                                      // 0000000046E4: 7E0C0328
	s_mov_b64 s[60:61], 0                                      // 0000000046E8: BEBC0180
	v_readlane_b32 s82, v3, 4                                  // 0000000046EC: D2890052 00010903
	s_and_b32 s82, s82, 0xffffff                               // 0000000046F4: 8652FF52 00FFFFFF
	s_cmp_lt_u32 s82, s66                                      // 0000000046FC: BF0A4252
	s_cselect_b32 s20, s36, s60                                // 000000004700: 85143C24
	v_readlane_b32 s82, v3, 5                                  // 000000004704: D2890052 00010B03
	s_and_b32 s82, s82, 0xffffff                               // 00000000470C: 8652FF52 00FFFFFF
	s_cmp_lt_u32 s82, s66                                      // 000000004714: BF0A4252
	s_cselect_b32 s21, s36, s60                                // 000000004718: 85153C24
	s_mov_b64 exec, s[20:21]                                   // 00000000471C: BEFE0114
	global_atomic_add_f32 v6, v58, s[8:9] offset:8             // 000000004720: DD348008 00083A06
	s_mov_b64 exec, s[36:37]                                   // 000000004728: BEFE0124
	v_mov_b32_e32 v6, v41                                      // 00000000472C: 7E0C0329
	s_mov_b64 s[60:61], 0                                      // 000000004730: BEBC0180
	v_readlane_b32 s82, v3, 6                                  // 000000004734: D2890052 00010D03
	s_and_b32 s82, s82, 0xffffff                               // 00000000473C: 8652FF52 00FFFFFF
	s_cmp_lt_u32 s82, s66                                      // 000000004744: BF0A4252
	s_cselect_b32 s20, s36, s60                                // 000000004748: 85143C24
	v_readlane_b32 s82, v3, 7                                  // 00000000474C: D2890052 00010F03
	s_and_b32 s82, s82, 0xffffff                               // 000000004754: 8652FF52 00FFFFFF
	s_cmp_lt_u32 s82, s66                                      // 00000000475C: BF0A4252
	s_cselect_b32 s21, s36, s60                                // 000000004760: 85153C24
	s_mov_b64 exec, s[20:21]                                   // 000000004764: BEFE0114
	global_atomic_add_f32 v6, v59, s[8:9] offset:8             // 000000004768: DD348008 00083B06
	s_mov_b64 exec, s[36:37]                                   // 000000004770: BEFE0124
	s_branch label_0D09                                        // 000000004774: BF8205A8

0000000000004778 <label_0761>:
	s_waitcnt vmcnt(6) lgkmcnt(0)                              // 000000004778: BF8C0076
	v_mfma_f32_16x16x32_fp8_fp8 v[44:47], a[32:33], a[0:1], v[44:47]// 00000000477C: D3F3002C 1CB20120
	buffer_load_dwordx4 a[48:51], v42, s[24:27], 0 offen       // 000000004784: E05C1000 8086302A
	v_mfma_f32_16x16x32_fp8_fp8 v[44:47], a[34:35], a[2:3], v[44:47]// 00000000478C: D3F3002C 1CB20522
	v_mfma_f32_16x16x32_fp8_fp8 v[44:47], a[36:37], a[4:5], v[44:47]// 000000004794: D3F3002C 1CB20924
	v_mfma_f32_16x16x32_fp8_fp8 v[44:47], a[38:39], a[6:7], v[44:47]// 00000000479C: D3F3002C 1CB20D26
	v_mfma_f32_16x16x32_fp8_fp8 v[48:51], a[32:33], a[8:9], v[48:51]// 0000000047A4: D3F30030 1CC21120
	buffer_load_dwordx4 a[52:55], v42, s[24:27], 0 offen offset:1024// 0000000047AC: E05C1400 8086342A
	buffer_load_dword v38, s[20:23], 0 offen lds               // 0000000047B4: E0511000 80050026
	s_add_u32 m0, 0x100, s50                                   // 0000000047BC: 807C32FF 00000100
	v_mfma_f32_16x16x32_fp8_fp8 v[48:51], a[34:35], a[10:11], v[48:51]// 0000000047C4: D3F30030 1CC21522
	v_mfma_f32_16x16x32_fp8_fp8 v[48:51], a[36:37], a[12:13], v[48:51]// 0000000047CC: D3F30030 1CC21924
	buffer_load_dword v39, s[20:23], 0 offen lds               // 0000000047D4: E0511000 80050027
	s_add_u32 m0, 0x200, s50                                   // 0000000047DC: 807C32FF 00000200
	v_mfma_f32_16x16x32_fp8_fp8 v[48:51], a[38:39], a[14:15], v[48:51]// 0000000047E4: D3F30030 1CC21D26
	buffer_load_dword v40, s[20:23], 0 offen lds               // 0000000047EC: E0511000 80050028
	s_add_u32 m0, 0x300, s50                                   // 0000000047F4: 807C32FF 00000300
	buffer_load_dword v41, s[20:23], 0 offen lds               // 0000000047FC: E0511000 80050029
	s_add_u32 m0, 0, s48                                       // 000000004804: 807C3080
	s_waitcnt vmcnt(6)                                         // 000000004808: BF8C0F76
	s_barrier                                                  // 00000000480C: BF8A0000
	v_mfma_f32_16x16x32_fp8_fp8 v[52:55], a[40:41], a[0:1], v[52:55]// 000000004810: D3F30034 1CD20128
	buffer_load_dwordx4 a[32:35], v42, s[84:87], 0 offen       // 000000004818: E05C1000 8095202A
	s_add_u32 s60, 0x180, s80                                  // 000000004820: 803C50FF 00000180
	s_cmp_lt_u32 s60, s81                                      // 000000004828: BF0A513C
	s_cselect_b32 s57, s57, 0                                  // 00000000482C: 85398039
	v_mfma_f32_16x16x32_fp8_fp8 v[52:55], a[42:43], a[2:3], v[52:55]// 000000004830: D3F30034 1CD2052A
	s_add_u32 s60, 0x100, s80                                  // 000000004838: 803C50FF 00000100
	s_cmp_lt_u32 s60, s81                                      // 000000004840: BF0A513C
	s_cselect_b32 s58, s58, 0                                  // 000000004844: 853A803A
	v_mfma_f32_16x16x32_fp8_fp8 v[52:55], a[44:45], a[4:5], v[52:55]// 000000004848: D3F30034 1CD2092C
	ds_read_b128 a[16:19], v2 offset:4224                      // 000000004850: DBFE1080 10000002
	ds_read_b128 a[20:23], v2 offset:4288                      // 000000004858: DBFE10C0 14000002
	s_add_u32 s60, 0x100, s80                                  // 000000004860: 803C50FF 00000100
	s_cmp_lt_u32 s60, s81                                      // 000000004868: BF0A513C
	s_cselect_b32 s83, s83, 0                                  // 00000000486C: 85538053
	v_mfma_f32_16x16x32_fp8_fp8 v[52:55], a[46:47], a[6:7], v[52:55]// 000000004870: D3F30034 1CD20D2E
	s_add_u32 s24, s58, s24                                    // 000000004878: 8018183A
	s_addc_u32 s25, 0, s25                                     // 00000000487C: 82191980
	v_mfma_f32_16x16x32_fp8_fp8 v[56:59], a[40:41], a[8:9], v[56:59]// 000000004880: D3F30038 1CE21128
	buffer_load_dwordx4 a[36:39], v42, s[84:87], 0 offen offset:1024// 000000004888: E05C1400 8095242A
	s_add_u32 s20, s57, s20                                    // 000000004890: 80141439
	s_addc_u32 s21, 0, s21                                     // 000000004894: 82151580
	v_mfma_f32_16x16x32_fp8_fp8 v[56:59], a[42:43], a[10:11], v[56:59]// 000000004898: D3F30038 1CE2152A
	s_add_u32 s84, s83, s84                                    // 0000000048A0: 80545453
	s_addc_u32 s85, 0, s85                                     // 0000000048A4: 82555580
	v_mfma_f32_16x16x32_fp8_fp8 v[56:59], a[44:45], a[12:13], v[56:59]// 0000000048A8: D3F30038 1CE2192C
	ds_read_b128 a[24:27], v2 offset:4736                      // 0000000048B0: DBFE1280 18000002
	ds_read_b128 a[28:31], v2 offset:4800                      // 0000000048B8: DBFE12C0 1C000002
	v_mfma_f32_16x16x32_fp8_fp8 v[56:59], a[46:47], a[14:15], v[56:59]// 0000000048C0: D3F30038 1CE21D2E
	s_addk_i32 s80, 0x80                                       // 0000000048C8: B7500080
	s_cmp_lt_i32 s80, s81                                      // 0000000048CC: BF045150
	s_cbranch_scc0 label_096C                                  // 0000000048D0: BF8401B4
	s_waitcnt vmcnt(6) lgkmcnt(0)                              // 0000000048D4: BF8C0076
	v_mfma_f32_16x16x32_fp8_fp8 v[44:47], a[48:49], a[16:17], v[44:47]// 0000000048D8: D3F3002C 1CB22130
	buffer_load_dwordx4 a[40:43], v42, s[24:27], 0 offen       // 0000000048E0: E05C1000 8086282A
	v_mfma_f32_16x16x32_fp8_fp8 v[44:47], a[50:51], a[18:19], v[44:47]// 0000000048E8: D3F3002C 1CB22532
	v_mfma_f32_16x16x32_fp8_fp8 v[44:47], a[52:53], a[20:21], v[44:47]// 0000000048F0: D3F3002C 1CB22934
	v_mfma_f32_16x16x32_fp8_fp8 v[44:47], a[54:55], a[22:23], v[44:47]// 0000000048F8: D3F3002C 1CB22D36
	v_mfma_f32_16x16x32_fp8_fp8 v[48:51], a[48:49], a[24:25], v[48:51]// 000000004900: D3F30030 1CC23130
	buffer_load_dwordx4 a[44:47], v42, s[24:27], 0 offen offset:1024// 000000004908: E05C1400 80862C2A
	buffer_load_dword v38, s[20:23], 0 offen lds               // 000000004910: E0511000 80050026
	s_add_u32 m0, 0x100, s48                                   // 000000004918: 807C30FF 00000100
	v_mfma_f32_16x16x32_fp8_fp8 v[48:51], a[50:51], a[26:27], v[48:51]// 000000004920: D3F30030 1CC23532
	v_mfma_f32_16x16x32_fp8_fp8 v[48:51], a[52:53], a[28:29], v[48:51]// 000000004928: D3F30030 1CC23934
	buffer_load_dword v39, s[20:23], 0 offen lds               // 000000004930: E0511000 80050027
	s_add_u32 m0, 0x200, s48                                   // 000000004938: 807C30FF 00000200
	v_mfma_f32_16x16x32_fp8_fp8 v[48:51], a[54:55], a[30:31], v[48:51]// 000000004940: D3F30030 1CC23D36
	buffer_load_dword v40, s[20:23], 0 offen lds               // 000000004948: E0511000 80050028
	s_add_u32 m0, 0x300, s48                                   // 000000004950: 807C30FF 00000300
	buffer_load_dword v41, s[20:23], 0 offen lds               // 000000004958: E0511000 80050029
	s_add_u32 m0, 0, s49                                       // 000000004960: 807C3180
	s_waitcnt vmcnt(6)                                         // 000000004964: BF8C0F76
	s_barrier                                                  // 000000004968: BF8A0000
	v_mfma_f32_16x16x32_fp8_fp8 v[52:55], a[32:33], a[16:17], v[52:55]// 00000000496C: D3F30034 1CD22120
	buffer_load_dwordx4 a[48:51], v42, s[84:87], 0 offen       // 000000004974: E05C1000 8095302A
	s_add_u32 s60, 0x180, s80                                  // 00000000497C: 803C50FF 00000180
	s_cmp_lt_u32 s60, s81                                      // 000000004984: BF0A513C
	s_cselect_b32 s57, s57, 0                                  // 000000004988: 85398039
	v_mfma_f32_16x16x32_fp8_fp8 v[52:55], a[34:35], a[18:19], v[52:55]// 00000000498C: D3F30034 1CD22522
	s_add_u32 s60, 0x100, s80                                  // 000000004994: 803C50FF 00000100
	s_cmp_lt_u32 s60, s81                                      // 00000000499C: BF0A513C
	s_cselect_b32 s58, s58, 0                                  // 0000000049A0: 853A803A
	v_mfma_f32_16x16x32_fp8_fp8 v[52:55], a[36:37], a[20:21], v[52:55]// 0000000049A4: D3F30034 1CD22924
	ds_read_b128 a[0:3], v2 offset:8448                        // 0000000049AC: DBFE2100 00000002
	ds_read_b128 a[4:7], v2 offset:8512                        // 0000000049B4: DBFE2140 04000002
	s_add_u32 s60, 0x100, s80                                  // 0000000049BC: 803C50FF 00000100
	s_cmp_lt_u32 s60, s81                                      // 0000000049C4: BF0A513C
	s_cselect_b32 s83, s83, 0                                  // 0000000049C8: 85538053
	v_mfma_f32_16x16x32_fp8_fp8 v[52:55], a[38:39], a[22:23], v[52:55]// 0000000049CC: D3F30034 1CD22D26
	s_add_u32 s24, s58, s24                                    // 0000000049D4: 8018183A
	s_addc_u32 s25, 0, s25                                     // 0000000049D8: 82191980
	v_mfma_f32_16x16x32_fp8_fp8 v[56:59], a[32:33], a[24:25], v[56:59]// 0000000049DC: D3F30038 1CE23120
	buffer_load_dwordx4 a[52:55], v42, s[84:87], 0 offen offset:1024// 0000000049E4: E05C1400 8095342A
	s_add_u32 s20, s57, s20                                    // 0000000049EC: 80141439
	s_addc_u32 s21, 0, s21                                     // 0000000049F0: 82151580
	v_mfma_f32_16x16x32_fp8_fp8 v[56:59], a[34:35], a[26:27], v[56:59]// 0000000049F4: D3F30038 1CE23522
	s_add_u32 s84, s83, s84                                    // 0000000049FC: 80545453
	s_addc_u32 s85, 0, s85                                     // 000000004A00: 82555580
	v_mfma_f32_16x16x32_fp8_fp8 v[56:59], a[36:37], a[28:29], v[56:59]// 000000004A04: D3F30038 1CE23924
	ds_read_b128 a[8:11], v2 offset:8960                       // 000000004A0C: DBFE2300 08000002
	ds_read_b128 a[12:15], v2 offset:9024                      // 000000004A14: DBFE2340 0C000002
	v_mfma_f32_16x16x32_fp8_fp8 v[56:59], a[38:39], a[30:31], v[56:59]// 000000004A1C: D3F30038 1CE23D26
	s_addk_i32 s80, 0x80                                       // 000000004A24: B7500080
	s_cmp_lt_i32 s80, s81                                      // 000000004A28: BF045150
	s_cbranch_scc0 label_096C                                  // 000000004A2C: BF84015D
	s_waitcnt vmcnt(6) lgkmcnt(0)                              // 000000004A30: BF8C0076
	v_mfma_f32_16x16x32_fp8_fp8 v[44:47], a[40:41], a[0:1], v[44:47]// 000000004A34: D3F3002C 1CB20128
	buffer_load_dwordx4 a[32:35], v42, s[24:27], 0 offen       // 000000004A3C: E05C1000 8086202A
	v_mfma_f32_16x16x32_fp8_fp8 v[44:47], a[42:43], a[2:3], v[44:47]// 000000004A44: D3F3002C 1CB2052A
	v_mfma_f32_16x16x32_fp8_fp8 v[44:47], a[44:45], a[4:5], v[44:47]// 000000004A4C: D3F3002C 1CB2092C
	v_mfma_f32_16x16x32_fp8_fp8 v[44:47], a[46:47], a[6:7], v[44:47]// 000000004A54: D3F3002C 1CB20D2E
	v_mfma_f32_16x16x32_fp8_fp8 v[48:51], a[40:41], a[8:9], v[48:51]// 000000004A5C: D3F30030 1CC21128
	buffer_load_dwordx4 a[36:39], v42, s[24:27], 0 offen offset:1024// 000000004A64: E05C1400 8086242A
	buffer_load_dword v38, s[20:23], 0 offen lds               // 000000004A6C: E0511000 80050026
	s_add_u32 m0, 0x100, s49                                   // 000000004A74: 807C31FF 00000100
	v_mfma_f32_16x16x32_fp8_fp8 v[48:51], a[42:43], a[10:11], v[48:51]// 000000004A7C: D3F30030 1CC2152A
	v_mfma_f32_16x16x32_fp8_fp8 v[48:51], a[44:45], a[12:13], v[48:51]// 000000004A84: D3F30030 1CC2192C
	buffer_load_dword v39, s[20:23], 0 offen lds               // 000000004A8C: E0511000 80050027
	s_add_u32 m0, 0x200, s49                                   // 000000004A94: 807C31FF 00000200
	v_mfma_f32_16x16x32_fp8_fp8 v[48:51], a[46:47], a[14:15], v[48:51]// 000000004A9C: D3F30030 1CC21D2E
	buffer_load_dword v40, s[20:23], 0 offen lds               // 000000004AA4: E0511000 80050028
	s_add_u32 m0, 0x300, s49                                   // 000000004AAC: 807C31FF 00000300
	buffer_load_dword v41, s[20:23], 0 offen lds               // 000000004AB4: E0511000 80050029
	s_add_u32 m0, 0, s50                                       // 000000004ABC: 807C3280
	s_waitcnt vmcnt(6)                                         // 000000004AC0: BF8C0F76
	s_barrier                                                  // 000000004AC4: BF8A0000
	v_mfma_f32_16x16x32_fp8_fp8 v[52:55], a[48:49], a[0:1], v[52:55]// 000000004AC8: D3F30034 1CD20130
	buffer_load_dwordx4 a[40:43], v42, s[84:87], 0 offen       // 000000004AD0: E05C1000 8095282A
	s_add_u32 s60, 0x180, s80                                  // 000000004AD8: 803C50FF 00000180
	s_cmp_lt_u32 s60, s81                                      // 000000004AE0: BF0A513C
	s_cselect_b32 s57, s57, 0                                  // 000000004AE4: 85398039
	v_mfma_f32_16x16x32_fp8_fp8 v[52:55], a[50:51], a[2:3], v[52:55]// 000000004AE8: D3F30034 1CD20532
	s_add_u32 s60, 0x100, s80                                  // 000000004AF0: 803C50FF 00000100
	s_cmp_lt_u32 s60, s81                                      // 000000004AF8: BF0A513C
	s_cselect_b32 s58, s58, 0                                  // 000000004AFC: 853A803A
	v_mfma_f32_16x16x32_fp8_fp8 v[52:55], a[52:53], a[4:5], v[52:55]// 000000004B00: D3F30034 1CD20934
	ds_read_b128 a[16:19], v2                                  // 000000004B08: DBFE0000 10000002
	ds_read_b128 a[20:23], v2 offset:64                        // 000000004B10: DBFE0040 14000002
	s_add_u32 s60, 0x100, s80                                  // 000000004B18: 803C50FF 00000100
	s_cmp_lt_u32 s60, s81                                      // 000000004B20: BF0A513C
	s_cselect_b32 s83, s83, 0                                  // 000000004B24: 85538053
	v_mfma_f32_16x16x32_fp8_fp8 v[52:55], a[54:55], a[6:7], v[52:55]// 000000004B28: D3F30034 1CD20D36
	s_add_u32 s24, s58, s24                                    // 000000004B30: 8018183A
	s_addc_u32 s25, 0, s25                                     // 000000004B34: 82191980
	v_mfma_f32_16x16x32_fp8_fp8 v[56:59], a[48:49], a[8:9], v[56:59]// 000000004B38: D3F30038 1CE21130
	buffer_load_dwordx4 a[44:47], v42, s[84:87], 0 offen offset:1024// 000000004B40: E05C1400 80952C2A
	s_add_u32 s20, s57, s20                                    // 000000004B48: 80141439
	s_addc_u32 s21, 0, s21                                     // 000000004B4C: 82151580
	v_mfma_f32_16x16x32_fp8_fp8 v[56:59], a[50:51], a[10:11], v[56:59]// 000000004B50: D3F30038 1CE21532
	s_add_u32 s84, s83, s84                                    // 000000004B58: 80545453
	s_addc_u32 s85, 0, s85                                     // 000000004B5C: 82555580
	v_mfma_f32_16x16x32_fp8_fp8 v[56:59], a[52:53], a[12:13], v[56:59]// 000000004B60: D3F30038 1CE21934
	ds_read_b128 a[24:27], v2 offset:512                       // 000000004B68: DBFE0200 18000002
	ds_read_b128 a[28:31], v2 offset:576                       // 000000004B70: DBFE0240 1C000002
	v_mfma_f32_16x16x32_fp8_fp8 v[56:59], a[54:55], a[14:15], v[56:59]// 000000004B78: D3F30038 1CE21D36
	s_addk_i32 s80, 0x80                                       // 000000004B80: B7500080
	s_cmp_lt_i32 s80, s81                                      // 000000004B84: BF045150
	s_cbranch_scc0 label_096C                                  // 000000004B88: BF840106
	s_waitcnt vmcnt(6) lgkmcnt(0)                              // 000000004B8C: BF8C0076
	v_mfma_f32_16x16x32_fp8_fp8 v[44:47], a[32:33], a[16:17], v[44:47]// 000000004B90: D3F3002C 1CB22120
	buffer_load_dwordx4 a[48:51], v42, s[24:27], 0 offen       // 000000004B98: E05C1000 8086302A
	v_mfma_f32_16x16x32_fp8_fp8 v[44:47], a[34:35], a[18:19], v[44:47]// 000000004BA0: D3F3002C 1CB22522
	v_mfma_f32_16x16x32_fp8_fp8 v[44:47], a[36:37], a[20:21], v[44:47]// 000000004BA8: D3F3002C 1CB22924
	v_mfma_f32_16x16x32_fp8_fp8 v[44:47], a[38:39], a[22:23], v[44:47]// 000000004BB0: D3F3002C 1CB22D26
	v_mfma_f32_16x16x32_fp8_fp8 v[48:51], a[32:33], a[24:25], v[48:51]// 000000004BB8: D3F30030 1CC23120
	buffer_load_dwordx4 a[52:55], v42, s[24:27], 0 offen offset:1024// 000000004BC0: E05C1400 8086342A
	buffer_load_dword v38, s[20:23], 0 offen lds               // 000000004BC8: E0511000 80050026
	s_add_u32 m0, 0x100, s50                                   // 000000004BD0: 807C32FF 00000100
	v_mfma_f32_16x16x32_fp8_fp8 v[48:51], a[34:35], a[26:27], v[48:51]// 000000004BD8: D3F30030 1CC23522
	v_mfma_f32_16x16x32_fp8_fp8 v[48:51], a[36:37], a[28:29], v[48:51]// 000000004BE0: D3F30030 1CC23924
	buffer_load_dword v39, s[20:23], 0 offen lds               // 000000004BE8: E0511000 80050027
	s_add_u32 m0, 0x200, s50                                   // 000000004BF0: 807C32FF 00000200
	v_mfma_f32_16x16x32_fp8_fp8 v[48:51], a[38:39], a[30:31], v[48:51]// 000000004BF8: D3F30030 1CC23D26
	buffer_load_dword v40, s[20:23], 0 offen lds               // 000000004C00: E0511000 80050028
	s_add_u32 m0, 0x300, s50                                   // 000000004C08: 807C32FF 00000300
	buffer_load_dword v41, s[20:23], 0 offen lds               // 000000004C10: E0511000 80050029
	s_add_u32 m0, 0, s48                                       // 000000004C18: 807C3080
	s_waitcnt vmcnt(6)                                         // 000000004C1C: BF8C0F76
	s_barrier                                                  // 000000004C20: BF8A0000
	v_mfma_f32_16x16x32_fp8_fp8 v[52:55], a[40:41], a[16:17], v[52:55]// 000000004C24: D3F30034 1CD22128
	buffer_load_dwordx4 a[32:35], v42, s[84:87], 0 offen       // 000000004C2C: E05C1000 8095202A
	s_add_u32 s60, 0x180, s80                                  // 000000004C34: 803C50FF 00000180
	s_cmp_lt_u32 s60, s81                                      // 000000004C3C: BF0A513C
	s_cselect_b32 s57, s57, 0                                  // 000000004C40: 85398039
	v_mfma_f32_16x16x32_fp8_fp8 v[52:55], a[42:43], a[18:19], v[52:55]// 000000004C44: D3F30034 1CD2252A
	s_add_u32 s60, 0x100, s80                                  // 000000004C4C: 803C50FF 00000100
	s_cmp_lt_u32 s60, s81                                      // 000000004C54: BF0A513C
	s_cselect_b32 s58, s58, 0                                  // 000000004C58: 853A803A
	v_mfma_f32_16x16x32_fp8_fp8 v[52:55], a[44:45], a[20:21], v[52:55]// 000000004C5C: D3F30034 1CD2292C
	ds_read_b128 a[0:3], v2 offset:4224                        // 000000004C64: DBFE1080 00000002
	ds_read_b128 a[4:7], v2 offset:4288                        // 000000004C6C: DBFE10C0 04000002
	s_add_u32 s60, 0x100, s80                                  // 000000004C74: 803C50FF 00000100
	s_cmp_lt_u32 s60, s81                                      // 000000004C7C: BF0A513C
	s_cselect_b32 s83, s83, 0                                  // 000000004C80: 85538053
	v_mfma_f32_16x16x32_fp8_fp8 v[52:55], a[46:47], a[22:23], v[52:55]// 000000004C84: D3F30034 1CD22D2E
	s_add_u32 s24, s58, s24                                    // 000000004C8C: 8018183A
	s_addc_u32 s25, 0, s25                                     // 000000004C90: 82191980
	v_mfma_f32_16x16x32_fp8_fp8 v[56:59], a[40:41], a[24:25], v[56:59]// 000000004C94: D3F30038 1CE23128
	buffer_load_dwordx4 a[36:39], v42, s[84:87], 0 offen offset:1024// 000000004C9C: E05C1400 8095242A
	s_add_u32 s20, s57, s20                                    // 000000004CA4: 80141439
	s_addc_u32 s21, 0, s21                                     // 000000004CA8: 82151580
	v_mfma_f32_16x16x32_fp8_fp8 v[56:59], a[42:43], a[26:27], v[56:59]// 000000004CAC: D3F30038 1CE2352A
	s_add_u32 s84, s83, s84                                    // 000000004CB4: 80545453
	s_addc_u32 s85, 0, s85                                     // 000000004CB8: 82555580
	v_mfma_f32_16x16x32_fp8_fp8 v[56:59], a[44:45], a[28:29], v[56:59]// 000000004CBC: D3F30038 1CE2392C
	ds_read_b128 a[8:11], v2 offset:4736                       // 000000004CC4: DBFE1280 08000002
	ds_read_b128 a[12:15], v2 offset:4800                      // 000000004CCC: DBFE12C0 0C000002
	v_mfma_f32_16x16x32_fp8_fp8 v[56:59], a[46:47], a[30:31], v[56:59]// 000000004CD4: D3F30038 1CE23D2E
	s_addk_i32 s80, 0x80                                       // 000000004CDC: B7500080
	s_cmp_lt_i32 s80, s81                                      // 000000004CE0: BF045150
	s_cbranch_scc0 label_096C                                  // 000000004CE4: BF8400AF
	s_waitcnt vmcnt(6) lgkmcnt(0)                              // 000000004CE8: BF8C0076
	v_mfma_f32_16x16x32_fp8_fp8 v[44:47], a[48:49], a[0:1], v[44:47]// 000000004CEC: D3F3002C 1CB20130
	buffer_load_dwordx4 a[40:43], v42, s[24:27], 0 offen       // 000000004CF4: E05C1000 8086282A
	v_mfma_f32_16x16x32_fp8_fp8 v[44:47], a[50:51], a[2:3], v[44:47]// 000000004CFC: D3F3002C 1CB20532
	v_mfma_f32_16x16x32_fp8_fp8 v[44:47], a[52:53], a[4:5], v[44:47]// 000000004D04: D3F3002C 1CB20934
	v_mfma_f32_16x16x32_fp8_fp8 v[44:47], a[54:55], a[6:7], v[44:47]// 000000004D0C: D3F3002C 1CB20D36
	v_mfma_f32_16x16x32_fp8_fp8 v[48:51], a[48:49], a[8:9], v[48:51]// 000000004D14: D3F30030 1CC21130
	buffer_load_dwordx4 a[44:47], v42, s[24:27], 0 offen offset:1024// 000000004D1C: E05C1400 80862C2A
	buffer_load_dword v38, s[20:23], 0 offen lds               // 000000004D24: E0511000 80050026
	s_add_u32 m0, 0x100, s48                                   // 000000004D2C: 807C30FF 00000100
	v_mfma_f32_16x16x32_fp8_fp8 v[48:51], a[50:51], a[10:11], v[48:51]// 000000004D34: D3F30030 1CC21532
	v_mfma_f32_16x16x32_fp8_fp8 v[48:51], a[52:53], a[12:13], v[48:51]// 000000004D3C: D3F30030 1CC21934
	buffer_load_dword v39, s[20:23], 0 offen lds               // 000000004D44: E0511000 80050027
	s_add_u32 m0, 0x200, s48                                   // 000000004D4C: 807C30FF 00000200
	v_mfma_f32_16x16x32_fp8_fp8 v[48:51], a[54:55], a[14:15], v[48:51]// 000000004D54: D3F30030 1CC21D36
	buffer_load_dword v40, s[20:23], 0 offen lds               // 000000004D5C: E0511000 80050028
	s_add_u32 m0, 0x300, s48                                   // 000000004D64: 807C30FF 00000300
	buffer_load_dword v41, s[20:23], 0 offen lds               // 000000004D6C: E0511000 80050029
	s_add_u32 m0, 0, s49                                       // 000000004D74: 807C3180
	s_waitcnt vmcnt(6)                                         // 000000004D78: BF8C0F76
	s_barrier                                                  // 000000004D7C: BF8A0000
	v_mfma_f32_16x16x32_fp8_fp8 v[52:55], a[32:33], a[0:1], v[52:55]// 000000004D80: D3F30034 1CD20120
	buffer_load_dwordx4 a[48:51], v42, s[84:87], 0 offen       // 000000004D88: E05C1000 8095302A
	s_add_u32 s60, 0x180, s80                                  // 000000004D90: 803C50FF 00000180
	s_cmp_lt_u32 s60, s81                                      // 000000004D98: BF0A513C
	s_cselect_b32 s57, s57, 0                                  // 000000004D9C: 85398039
	v_mfma_f32_16x16x32_fp8_fp8 v[52:55], a[34:35], a[2:3], v[52:55]// 000000004DA0: D3F30034 1CD20522
	s_add_u32 s60, 0x100, s80                                  // 000000004DA8: 803C50FF 00000100
	s_cmp_lt_u32 s60, s81                                      // 000000004DB0: BF0A513C
	s_cselect_b32 s58, s58, 0                                  // 000000004DB4: 853A803A
	v_mfma_f32_16x16x32_fp8_fp8 v[52:55], a[36:37], a[4:5], v[52:55]// 000000004DB8: D3F30034 1CD20924
	ds_read_b128 a[16:19], v2 offset:8448                      // 000000004DC0: DBFE2100 10000002
	ds_read_b128 a[20:23], v2 offset:8512                      // 000000004DC8: DBFE2140 14000002
	s_add_u32 s60, 0x100, s80                                  // 000000004DD0: 803C50FF 00000100
	s_cmp_lt_u32 s60, s81                                      // 000000004DD8: BF0A513C
	s_cselect_b32 s83, s83, 0                                  // 000000004DDC: 85538053
	v_mfma_f32_16x16x32_fp8_fp8 v[52:55], a[38:39], a[6:7], v[52:55]// 000000004DE0: D3F30034 1CD20D26
	s_add_u32 s24, s58, s24                                    // 000000004DE8: 8018183A
	s_addc_u32 s25, 0, s25                                     // 000000004DEC: 82191980
	v_mfma_f32_16x16x32_fp8_fp8 v[56:59], a[32:33], a[8:9], v[56:59]// 000000004DF0: D3F30038 1CE21120
	buffer_load_dwordx4 a[52:55], v42, s[84:87], 0 offen offset:1024// 000000004DF8: E05C1400 8095342A
	s_add_u32 s20, s57, s20                                    // 000000004E00: 80141439
	s_addc_u32 s21, 0, s21                                     // 000000004E04: 82151580
	v_mfma_f32_16x16x32_fp8_fp8 v[56:59], a[34:35], a[10:11], v[56:59]// 000000004E08: D3F30038 1CE21522
	s_add_u32 s84, s83, s84                                    // 000000004E10: 80545453
	s_addc_u32 s85, 0, s85                                     // 000000004E14: 82555580
	v_mfma_f32_16x16x32_fp8_fp8 v[56:59], a[36:37], a[12:13], v[56:59]// 000000004E18: D3F30038 1CE21924
	ds_read_b128 a[24:27], v2 offset:8960                      // 000000004E20: DBFE2300 18000002
	ds_read_b128 a[28:31], v2 offset:9024                      // 000000004E28: DBFE2340 1C000002
	v_mfma_f32_16x16x32_fp8_fp8 v[56:59], a[38:39], a[14:15], v[56:59]// 000000004E30: D3F30038 1CE21D26
	s_addk_i32 s80, 0x80                                       // 000000004E38: B7500080
	s_cmp_lt_i32 s80, s81                                      // 000000004E3C: BF045150
	s_cbranch_scc0 label_096C                                  // 000000004E40: BF840058
	s_waitcnt vmcnt(6) lgkmcnt(0)                              // 000000004E44: BF8C0076
	v_mfma_f32_16x16x32_fp8_fp8 v[44:47], a[40:41], a[16:17], v[44:47]// 000000004E48: D3F3002C 1CB22128
	buffer_load_dwordx4 a[32:35], v42, s[24:27], 0 offen       // 000000004E50: E05C1000 8086202A
	v_mfma_f32_16x16x32_fp8_fp8 v[44:47], a[42:43], a[18:19], v[44:47]// 000000004E58: D3F3002C 1CB2252A
	v_mfma_f32_16x16x32_fp8_fp8 v[44:47], a[44:45], a[20:21], v[44:47]// 000000004E60: D3F3002C 1CB2292C
	v_mfma_f32_16x16x32_fp8_fp8 v[44:47], a[46:47], a[22:23], v[44:47]// 000000004E68: D3F3002C 1CB22D2E
	v_mfma_f32_16x16x32_fp8_fp8 v[48:51], a[40:41], a[24:25], v[48:51]// 000000004E70: D3F30030 1CC23128
	buffer_load_dwordx4 a[36:39], v42, s[24:27], 0 offen offset:1024// 000000004E78: E05C1400 8086242A
	buffer_load_dword v38, s[20:23], 0 offen lds               // 000000004E80: E0511000 80050026
	s_add_u32 m0, 0x100, s49                                   // 000000004E88: 807C31FF 00000100
	v_mfma_f32_16x16x32_fp8_fp8 v[48:51], a[42:43], a[26:27], v[48:51]// 000000004E90: D3F30030 1CC2352A
	v_mfma_f32_16x16x32_fp8_fp8 v[48:51], a[44:45], a[28:29], v[48:51]// 000000004E98: D3F30030 1CC2392C
	buffer_load_dword v39, s[20:23], 0 offen lds               // 000000004EA0: E0511000 80050027
	s_add_u32 m0, 0x200, s49                                   // 000000004EA8: 807C31FF 00000200
	v_mfma_f32_16x16x32_fp8_fp8 v[48:51], a[46:47], a[30:31], v[48:51]// 000000004EB0: D3F30030 1CC23D2E
	buffer_load_dword v40, s[20:23], 0 offen lds               // 000000004EB8: E0511000 80050028
	s_add_u32 m0, 0x300, s49                                   // 000000004EC0: 807C31FF 00000300
	buffer_load_dword v41, s[20:23], 0 offen lds               // 000000004EC8: E0511000 80050029
	s_add_u32 m0, 0, s50                                       // 000000004ED0: 807C3280
	s_waitcnt vmcnt(6)                                         // 000000004ED4: BF8C0F76
	s_barrier                                                  // 000000004ED8: BF8A0000
	v_mfma_f32_16x16x32_fp8_fp8 v[52:55], a[48:49], a[16:17], v[52:55]// 000000004EDC: D3F30034 1CD22130
	buffer_load_dwordx4 a[40:43], v42, s[84:87], 0 offen       // 000000004EE4: E05C1000 8095282A
	s_add_u32 s60, 0x180, s80                                  // 000000004EEC: 803C50FF 00000180
	s_cmp_lt_u32 s60, s81                                      // 000000004EF4: BF0A513C
	s_cselect_b32 s57, s57, 0                                  // 000000004EF8: 85398039
	v_mfma_f32_16x16x32_fp8_fp8 v[52:55], a[50:51], a[18:19], v[52:55]// 000000004EFC: D3F30034 1CD22532
	s_add_u32 s60, 0x100, s80                                  // 000000004F04: 803C50FF 00000100
	s_cmp_lt_u32 s60, s81                                      // 000000004F0C: BF0A513C
	s_cselect_b32 s58, s58, 0                                  // 000000004F10: 853A803A
	v_mfma_f32_16x16x32_fp8_fp8 v[52:55], a[52:53], a[20:21], v[52:55]// 000000004F14: D3F30034 1CD22934
	ds_read_b128 a[0:3], v2                                    // 000000004F1C: DBFE0000 00000002
	ds_read_b128 a[4:7], v2 offset:64                          // 000000004F24: DBFE0040 04000002
	s_add_u32 s60, 0x100, s80                                  // 000000004F2C: 803C50FF 00000100
	s_cmp_lt_u32 s60, s81                                      // 000000004F34: BF0A513C
	s_cselect_b32 s83, s83, 0                                  // 000000004F38: 85538053
	v_mfma_f32_16x16x32_fp8_fp8 v[52:55], a[54:55], a[22:23], v[52:55]// 000000004F3C: D3F30034 1CD22D36
	s_add_u32 s24, s58, s24                                    // 000000004F44: 8018183A
	s_addc_u32 s25, 0, s25                                     // 000000004F48: 82191980
	v_mfma_f32_16x16x32_fp8_fp8 v[56:59], a[48:49], a[24:25], v[56:59]// 000000004F4C: D3F30038 1CE23130
	buffer_load_dwordx4 a[44:47], v42, s[84:87], 0 offen offset:1024// 000000004F54: E05C1400 80952C2A
	s_add_u32 s20, s57, s20                                    // 000000004F5C: 80141439
	s_addc_u32 s21, 0, s21                                     // 000000004F60: 82151580
	v_mfma_f32_16x16x32_fp8_fp8 v[56:59], a[50:51], a[26:27], v[56:59]// 000000004F64: D3F30038 1CE23532
	s_add_u32 s84, s83, s84                                    // 000000004F6C: 80545453
	s_addc_u32 s85, 0, s85                                     // 000000004F70: 82555580
	v_mfma_f32_16x16x32_fp8_fp8 v[56:59], a[52:53], a[28:29], v[56:59]// 000000004F74: D3F30038 1CE23934
	ds_read_b128 a[8:11], v2 offset:512                        // 000000004F7C: DBFE0200 08000002
	ds_read_b128 a[12:15], v2 offset:576                       // 000000004F84: DBFE0240 0C000002
	v_mfma_f32_16x16x32_fp8_fp8 v[56:59], a[54:55], a[30:31], v[56:59]// 000000004F8C: D3F30038 1CE23D36
	s_addk_i32 s80, 0x80                                       // 000000004F94: B7500080
	s_cmp_lt_i32 s80, s81                                      // 000000004F98: BF045150
	s_cbranch_scc0 label_096C                                  // 000000004F9C: BF840001
	s_branch label_0761                                        // 000000004FA0: BF82FDF5

0000000000004fa4 <label_096C>:
	v_mul_f32_dpp v44, v24, v44 row_newbcast:0 row_mask:0xf bank_mask:0xf// 000000004FA4: 0A5858FA FF015018
	v_mul_f32_dpp v45, v24, v45 row_newbcast:1 row_mask:0xf bank_mask:0xf// 000000004FAC: 0A5A5AFA FF015118
	v_mul_f32_dpp v46, v24, v46 row_newbcast:2 row_mask:0xf bank_mask:0xf// 000000004FB4: 0A5C5CFA FF015218
	v_mul_f32_dpp v47, v24, v47 row_newbcast:3 row_mask:0xf bank_mask:0xf// 000000004FBC: 0A5E5EFA FF015318
	v_mul_f32_dpp v48, v24, v48 row_newbcast:0 row_mask:0xf bank_mask:0xf// 000000004FC4: 0A6060FA FF015018
	v_mul_f32_dpp v49, v24, v49 row_newbcast:1 row_mask:0xf bank_mask:0xf// 000000004FCC: 0A6262FA FF015118
	v_mul_f32_dpp v50, v24, v50 row_newbcast:2 row_mask:0xf bank_mask:0xf// 000000004FD4: 0A6464FA FF015218
	v_mul_f32_dpp v51, v24, v51 row_newbcast:3 row_mask:0xf bank_mask:0xf// 000000004FDC: 0A6666FA FF015318
	v_mul_f32_dpp v52, v27, v52 row_newbcast:0 row_mask:0xf bank_mask:0xf// 000000004FE4: 0A6868FA FF01501B
	v_mul_f32_dpp v53, v27, v53 row_newbcast:1 row_mask:0xf bank_mask:0xf// 000000004FEC: 0A6A6AFA FF01511B
	v_mul_f32_dpp v54, v27, v54 row_newbcast:2 row_mask:0xf bank_mask:0xf// 000000004FF4: 0A6C6CFA FF01521B
	v_mul_f32_dpp v55, v27, v55 row_newbcast:3 row_mask:0xf bank_mask:0xf// 000000004FFC: 0A6E6EFA FF01531B
	v_mul_f32_dpp v56, v27, v56 row_newbcast:0 row_mask:0xf bank_mask:0xf// 000000005004: 0A7070FA FF01501B
	v_mul_f32_dpp v57, v27, v57 row_newbcast:1 row_mask:0xf bank_mask:0xf// 00000000500C: 0A7272FA FF01511B
	v_mul_f32_dpp v58, v27, v58 row_newbcast:2 row_mask:0xf bank_mask:0xf// 000000005014: 0A7474FA FF01521B
	v_mul_f32_dpp v59, v27, v59 row_newbcast:3 row_mask:0xf bank_mask:0xf// 00000000501C: 0A7676FA FF01531B
	v_mov_b32_e32 v4, v32                                      // 000000005024: 7E080320
	v_mov_b32_e32 v5, v4                                       // 000000005028: 7E0A0304
	v_pk_mul_f32 v[44:45], v[4:5], v[44:45]                    // 00000000502C: D3B1402C 18025904
	v_pk_mul_f32 v[52:53], v[4:5], v[52:53]                    // 000000005034: D3B14034 18026904
	v_pk_mul_f32 v[46:47], v[4:5], v[46:47]                    // 00000000503C: D3B1402E 18025D04
	v_pk_mul_f32 v[54:55], v[4:5], v[54:55]                    // 000000005044: D3B14036 18026D04
	v_mov_b32_e32 v4, v33                                      // 00000000504C: 7E080321
	v_mov_b32_e32 v5, v4                                       // 000000005050: 7E0A0304
	v_pk_mul_f32 v[48:49], v[4:5], v[48:49]                    // 000000005054: D3B14030 18026104
	v_pk_mul_f32 v[56:57], v[4:5], v[56:57]                    // 00000000505C: D3B14038 18027104
	v_pk_mul_f32 v[50:51], v[4:5], v[50:51]                    // 000000005064: D3B14032 18026504
	v_pk_mul_f32 v[58:59], v[4:5], v[58:59]                    // 00000000506C: D3B1403A 18027504
	s_cmp_eq_u32 s88, 0                                        // 000000005074: BF068058
	s_cbranch_scc0 label_0B37                                  // 000000005078: BF840195
	s_cmp_eq_u32 s89, 0                                        // 00000000507C: BF068059
	s_cbranch_scc1 label_09F9                                  // 000000005080: BF850055
	v_mov_b32_e32 v8, v1                                       // 000000005084: 7E100301
	v_mov_b32_e32 v9, v1                                       // 000000005088: 7E120301
	s_mov_b32 s60, s6                                          // 00000000508C: BEBC0006
	s_mov_b32 s61, s6                                          // 000000005090: BEBD0006
	v_pk_mul_f32 v[4:5], v[44:45], v[44:45]                    // 000000005094: D3B14004 1802592C
	v_pk_mul_f32 v[6:7], v[46:47], v[46:47]                    // 00000000509C: D3B14006 18025D2E
	v_pk_fma_f32 v[4:5], v[4:5], s[78:79], v[8:9]              // 0000000050A4: D3B04004 1C209D04
	v_pk_fma_f32 v[6:7], v[6:7], s[78:79], v[8:9]              // 0000000050AC: D3B04006 1C209D06
	v_pk_mul_f32 v[4:5], v[4:5], v[44:45]                      // 0000000050B4: D3B14004 18025904
	v_pk_mul_f32 v[6:7], v[6:7], v[46:47]                      // 0000000050BC: D3B14006 18025D06
	v_pk_mul_f32 v[4:5], v[4:5], s[60:61]                      // 0000000050C4: D3B14004 18007904
	v_pk_mul_f32 v[6:7], v[6:7], s[60:61]                      // 0000000050CC: D3B14006 18007906
	v_exp_f32_e32 v4, v4                                       // 0000000050D4: 7E084104
	v_exp_f32_e32 v5, v5                                       // 0000000050D8: 7E0A4105
	v_exp_f32_e32 v6, v6                                       // 0000000050DC: 7E0C4106
	v_exp_f32_e32 v7, v7                                       // 0000000050E0: 7E0E4107
	v_add_f32_e64 v4, v4, 1.0                                  // 0000000050E4: D1010004 0001E504
	v_add_f32_e64 v5, v5, 1.0                                  // 0000000050EC: D1010005 0001E505
	v_add_f32_e64 v6, v6, 1.0                                  // 0000000050F4: D1010006 0001E506
	v_add_f32_e64 v7, v7, 1.0                                  // 0000000050FC: D1010007 0001E507
	v_rcp_f32_e32 v4, v4                                       // 000000005104: 7E084504
	v_rcp_f32_e32 v5, v5                                       // 000000005108: 7E0A4505
	v_rcp_f32_e32 v6, v6                                       // 00000000510C: 7E0C4506
	v_rcp_f32_e32 v7, v7                                       // 000000005110: 7E0E4507
	v_mul_f32_e32 v44, v44, v4                                 // 000000005114: 0A58092C
	v_mul_f32_e32 v45, v45, v5                                 // 000000005118: 0A5A0B2D
	v_mul_f32_e32 v46, v46, v6                                 // 00000000511C: 0A5C0D2E
	v_mul_f32_e32 v47, v47, v7                                 // 000000005120: 0A5E0F2F
	v_mul_f32_e32 v44, v44, v52                                // 000000005124: 0A58692C
	v_mul_f32_e32 v45, v45, v53                                // 000000005128: 0A5A6B2D
	v_mul_f32_e32 v46, v46, v54                                // 00000000512C: 0A5C6D2E
	v_mul_f32_e32 v47, v47, v55                                // 000000005130: 0A5E6F2F
	v_pk_mul_f32 v[4:5], v[48:49], v[48:49]                    // 000000005134: D3B14004 18026130
	v_pk_mul_f32 v[6:7], v[50:51], v[50:51]                    // 00000000513C: D3B14006 18026532
	v_pk_fma_f32 v[4:5], v[4:5], s[78:79], v[8:9]              // 000000005144: D3B04004 1C209D04
	v_pk_fma_f32 v[6:7], v[6:7], s[78:79], v[8:9]              // 00000000514C: D3B04006 1C209D06
	v_pk_mul_f32 v[4:5], v[4:5], v[48:49]                      // 000000005154: D3B14004 18026104
	v_pk_mul_f32 v[6:7], v[6:7], v[50:51]                      // 00000000515C: D3B14006 18026506
	v_pk_mul_f32 v[4:5], v[4:5], s[60:61]                      // 000000005164: D3B14004 18007904
	v_pk_mul_f32 v[6:7], v[6:7], s[60:61]                      // 00000000516C: D3B14006 18007906
	v_exp_f32_e32 v4, v4                                       // 000000005174: 7E084104
	v_exp_f32_e32 v5, v5                                       // 000000005178: 7E0A4105
	v_exp_f32_e32 v6, v6                                       // 00000000517C: 7E0C4106
	v_exp_f32_e32 v7, v7                                       // 000000005180: 7E0E4107
	v_add_f32_e64 v4, v4, 1.0                                  // 000000005184: D1010004 0001E504
	v_add_f32_e64 v5, v5, 1.0                                  // 00000000518C: D1010005 0001E505
	v_add_f32_e64 v6, v6, 1.0                                  // 000000005194: D1010006 0001E506
	v_add_f32_e64 v7, v7, 1.0                                  // 00000000519C: D1010007 0001E507
	v_rcp_f32_e32 v4, v4                                       // 0000000051A4: 7E084504
	v_rcp_f32_e32 v5, v5                                       // 0000000051A8: 7E0A4505
	v_rcp_f32_e32 v6, v6                                       // 0000000051AC: 7E0C4506
	v_rcp_f32_e32 v7, v7                                       // 0000000051B0: 7E0E4507
	v_mul_f32_e32 v48, v48, v4                                 // 0000000051B4: 0A600930
	v_mul_f32_e32 v49, v49, v5                                 // 0000000051B8: 0A620B31
	v_mul_f32_e32 v50, v50, v6                                 // 0000000051BC: 0A640D32
	v_mul_f32_e32 v51, v51, v7                                 // 0000000051C0: 0A660F33
	v_mul_f32_e32 v48, v48, v56                                // 0000000051C4: 0A607130
	v_mul_f32_e32 v49, v49, v57                                // 0000000051C8: 0A627331
	v_mul_f32_e32 v50, v50, v58                                // 0000000051CC: 0A647532
	v_mul_f32_e32 v51, v51, v59                                // 0000000051D0: 0A667733
	s_branch label_0A39                                        // 0000000051D4: BF820040

00000000000051d8 <label_09F9>:
	v_mul_f32_e64 v4, -v44, s6                                 // 0000000051D8: D1050004 20000D2C
	v_mul_f32_e64 v5, -v45, s6                                 // 0000000051E0: D1050005 20000D2D
	v_mul_f32_e64 v6, -v46, s6                                 // 0000000051E8: D1050006 20000D2E
	v_mul_f32_e64 v7, -v47, s6                                 // 0000000051F0: D1050007 20000D2F
	v_exp_f32_e32 v4, v4                                       // 0000000051F8: 7E084104
	v_exp_f32_e32 v5, v5                                       // 0000000051FC: 7E0A4105
	v_exp_f32_e32 v6, v6                                       // 000000005200: 7E0C4106
	v_exp_f32_e32 v7, v7                                       // 000000005204: 7E0E4107
	v_add_f32_e64 v4, v4, 1.0                                  // 000000005208: D1010004 0001E504
	v_add_f32_e64 v5, v5, 1.0                                  // 000000005210: D1010005 0001E505
	v_add_f32_e64 v6, v6, 1.0                                  // 000000005218: D1010006 0001E506
	v_add_f32_e64 v7, v7, 1.0                                  // 000000005220: D1010007 0001E507
	v_rcp_f32_e32 v4, v4                                       // 000000005228: 7E084504
	v_rcp_f32_e32 v5, v5                                       // 00000000522C: 7E0A4505
	v_rcp_f32_e32 v6, v6                                       // 000000005230: 7E0C4506
	v_rcp_f32_e32 v7, v7                                       // 000000005234: 7E0E4507
	v_mul_f32_e32 v44, v44, v4                                 // 000000005238: 0A58092C
	v_mul_f32_e32 v45, v45, v5                                 // 00000000523C: 0A5A0B2D
	v_mul_f32_e32 v46, v46, v6                                 // 000000005240: 0A5C0D2E
	v_mul_f32_e32 v47, v47, v7                                 // 000000005244: 0A5E0F2F
	v_mul_f32_e32 v44, v44, v52                                // 000000005248: 0A58692C
	v_mul_f32_e32 v45, v45, v53                                // 00000000524C: 0A5A6B2D
	v_mul_f32_e32 v46, v46, v54                                // 000000005250: 0A5C6D2E
	v_mul_f32_e32 v47, v47, v55                                // 000000005254: 0A5E6F2F
	v_mul_f32_e64 v4, -v48, s6                                 // 000000005258: D1050004 20000D30
	v_mul_f32_e64 v5, -v49, s6                                 // 000000005260: D1050005 20000D31
	v_mul_f32_e64 v6, -v50, s6                                 // 000000005268: D1050006 20000D32
	v_mul_f32_e64 v7, -v51, s6                                 // 000000005270: D1050007 20000D33
	v_exp_f32_e32 v4, v4                                       // 000000005278: 7E084104
	v_exp_f32_e32 v5, v5                                       // 00000000527C: 7E0A4105
	v_exp_f32_e32 v6, v6                                       // 000000005280: 7E0C4106
	v_exp_f32_e32 v7, v7                                       // 000000005284: 7E0E4107
	v_add_f32_e64 v4, v4, 1.0                                  // 000000005288: D1010004 0001E504
	v_add_f32_e64 v5, v5, 1.0                                  // 000000005290: D1010005 0001E505
	v_add_f32_e64 v6, v6, 1.0                                  // 000000005298: D1010006 0001E506
	v_add_f32_e64 v7, v7, 1.0                                  // 0000000052A0: D1010007 0001E507
	v_rcp_f32_e32 v4, v4                                       // 0000000052A8: 7E084504
	v_rcp_f32_e32 v5, v5                                       // 0000000052AC: 7E0A4505
	v_rcp_f32_e32 v6, v6                                       // 0000000052B0: 7E0C4506
	v_rcp_f32_e32 v7, v7                                       // 0000000052B4: 7E0E4507
	v_mul_f32_e32 v48, v48, v4                                 // 0000000052B8: 0A600930
	v_mul_f32_e32 v49, v49, v5                                 // 0000000052BC: 0A620B31
	v_mul_f32_e32 v50, v50, v6                                 // 0000000052C0: 0A640D32
	v_mul_f32_e32 v51, v51, v7                                 // 0000000052C4: 0A660F33
	v_mul_f32_e32 v48, v48, v56                                // 0000000052C8: 0A607130
	v_mul_f32_e32 v49, v49, v57                                // 0000000052CC: 0A627331
	v_mul_f32_e32 v50, v50, v58                                // 0000000052D0: 0A647532
	v_mul_f32_e32 v51, v51, v59                                // 0000000052D4: 0A667733

00000000000052d8 <label_0A39>:
	v_cmp_u_f32_e64 s[46:47], v44, v44                         // 0000000052D8: D048002E 0002592C
	v_add3_u32 v16, v44, v19, 1                                // 0000000052E0: D1FF0010 0206272C
	v_cndmask_b32_e64 v4, v16, v18, s[46:47]                   // 0000000052E8: D1000004 00BA2510
	v_cmp_u_f32_e64 s[46:47], v45, v45                         // 0000000052F0: D048002E 00025B2D
	v_add3_u32 v16, v45, v19, 1                                // 0000000052F8: D1FF0010 0206272D
	v_cndmask_b32_e64 v5, v16, v18, s[46:47]                   // 000000005300: D1000005 00BA2510
	v_perm_b32 v44, v5, v4, s52                                // 000000005308: D1ED002C 00D20905
	v_cmp_u_f32_e64 s[46:47], v46, v46                         // 000000005310: D048002E 00025D2E
	v_add3_u32 v16, v46, v19, 1                                // 000000005318: D1FF0010 0206272E
	v_cndmask_b32_e64 v4, v16, v18, s[46:47]                   // 000000005320: D1000004 00BA2510
	v_cmp_u_f32_e64 s[46:47], v47, v47                         // 000000005328: D048002E 00025F2F
	v_add3_u32 v16, v47, v19, 1                                // 000000005330: D1FF0010 0206272F
	v_cndmask_b32_e64 v5, v16, v18, s[46:47]                   // 000000005338: D1000005 00BA2510
	v_perm_b32 v45, v5, v4, s52                                // 000000005340: D1ED002D 00D20905
	v_cmp_u_f32_e64 s[46:47], v48, v48                         // 000000005348: D048002E 00026130
	v_add3_u32 v16, v48, v19, 1                                // 000000005350: D1FF0010 02062730
	v_cndmask_b32_e64 v4, v16, v18, s[46:47]                   // 000000005358: D1000004 00BA2510
	v_cmp_u_f32_e64 s[46:47], v49, v49                         // 000000005360: D048002E 00026331
	v_add3_u32 v16, v49, v19, 1                                // 000000005368: D1FF0010 02062731
	v_cndmask_b32_e64 v5, v16, v18, s[46:47]                   // 000000005370: D1000005 00BA2510
	v_perm_b32 v46, v5, v4, s52                                // 000000005378: D1ED002E 00D20905
	v_cmp_u_f32_e64 s[46:47], v50, v50                         // 000000005380: D048002E 00026532
	v_add3_u32 v16, v50, v19, 1                                // 000000005388: D1FF0010 02062732
	v_cndmask_b32_e64 v4, v16, v18, s[46:47]                   // 000000005390: D1000004 00BA2510
	v_cmp_u_f32_e64 s[46:47], v51, v51                         // 000000005398: D048002E 00026733
	v_add3_u32 v16, v51, v19, 1                                // 0000000053A0: D1FF0010 02062733
	v_cndmask_b32_e64 v5, v16, v18, s[46:47]                   // 0000000053A8: D1000005 00BA2510
	v_perm_b32 v47, v5, v4, s52                                // 0000000053B0: D1ED002F 00D20905
	ds_write_b64 v20, v[44:45]                                 // 0000000053B8: D89A0000 00002C14
	ds_write_b64 v20, v[46:47] offset:2176                     // 0000000053C0: D89A0880 00002E14
	v_lshrrev_b32_e32 v4, 5, v0                                // 0000000053C8: 20080085
	v_xor_b32_e32 v5, 1, v4                                    // 0000000053CC: 2A0A0881
	s_mul_i32 s60, s65, 2                                      // 0000000053D0: 923C8241
	s_cmp_eq_u32 s88, 0                                        // 0000000053D4: BF068058
	s_cselect_b32 s61, 1, 4                                    // 0000000053D8: 853D8481
	s_mul_i32 s60, s61, s60                                    // 0000000053DC: 923C3C3D
	v_readlane_b32 s82, v3, 0                                  // 0000000053E0: D2890052 00010103
	s_lshr_b32 s61, s82, 24                                    // 0000000053E8: 8F3D9852
	s_and_b32 s82, s82, 0xffffff                               // 0000000053EC: 8652FF52 00FFFFFF
	s_mul_i32 s82, s82, s71                                    // 0000000053F4: 92524752
	s_mul_i32 s61, s60, s61                                    // 0000000053F8: 923D3D3C
	s_add_u32 s82, s82, s61                                    // 0000000053FC: 80523D52
	v_mul_lo_u32 v6, v5, s82                                   // 000000005400: D2850006 0000A505
	v_readlane_b32 s82, v3, 1                                  // 000000005408: D2890052 00010303
	s_lshr_b32 s61, s82, 24                                    // 000000005410: 8F3D9852
	s_and_b32 s82, s82, 0xffffff                               // 000000005414: 8652FF52 00FFFFFF
	s_mul_i32 s82, s82, s71                                    // 00000000541C: 92524752
	s_mul_i32 s61, s60, s61                                    // 000000005420: 923D3D3C
	s_add_u32 s82, s82, s61                                    // 000000005424: 80523D52
	v_mul_lo_u32 v7, v4, s82                                   // 000000005428: D2850007 0000A504
	v_add_u32_e32 v38, v6, v7                                  // 000000005430: 684C0F06
	v_readlane_b32 s82, v3, 2                                  // 000000005434: D2890052 00010503
	s_lshr_b32 s61, s82, 24                                    // 00000000543C: 8F3D9852
	s_and_b32 s82, s82, 0xffffff                               // 000000005440: 8652FF52 00FFFFFF
	s_mul_i32 s82, s82, s71                                    // 000000005448: 92524752
	s_mul_i32 s61, s60, s61                                    // 00000000544C: 923D3D3C
	s_add_u32 s82, s82, s61                                    // 000000005450: 80523D52
	v_mul_lo_u32 v6, v5, s82                                   // 000000005454: D2850006 0000A505
	v_readlane_b32 s82, v3, 3                                  // 00000000545C: D2890052 00010703
	s_lshr_b32 s61, s82, 24                                    // 000000005464: 8F3D9852
	s_and_b32 s82, s82, 0xffffff                               // 000000005468: 8652FF52 00FFFFFF
	s_mul_i32 s82, s82, s71                                    // 000000005470: 92524752
	s_mul_i32 s61, s60, s61                                    // 000000005474: 923D3D3C
	s_add_u32 s82, s82, s61                                    // 000000005478: 80523D52
	v_mul_lo_u32 v7, v4, s82                                   // 00000000547C: D2850007 0000A504
	v_add_u32_e32 v39, v6, v7                                  // 000000005484: 684E0F06
	v_readlane_b32 s82, v3, 4                                  // 000000005488: D2890052 00010903
	s_lshr_b32 s61, s82, 24                                    // 000000005490: 8F3D9852
	s_and_b32 s82, s82, 0xffffff                               // 000000005494: 8652FF52 00FFFFFF
	s_mul_i32 s82, s82, s71                                    // 00000000549C: 92524752
	s_mul_i32 s61, s60, s61                                    // 0000000054A0: 923D3D3C
	s_add_u32 s82, s82, s61                                    // 0000000054A4: 80523D52
	v_mul_lo_u32 v6, v5, s82                                   // 0000000054A8: D2850006 0000A505
	v_readlane_b32 s82, v3, 5                                  // 0000000054B0: D2890052 00010B03
	s_lshr_b32 s61, s82, 24                                    // 0000000054B8: 8F3D9852
	s_and_b32 s82, s82, 0xffffff                               // 0000000054BC: 8652FF52 00FFFFFF
	s_mul_i32 s82, s82, s71                                    // 0000000054C4: 92524752
	s_mul_i32 s61, s60, s61                                    // 0000000054C8: 923D3D3C
	s_add_u32 s82, s82, s61                                    // 0000000054CC: 80523D52
	v_mul_lo_u32 v7, v4, s82                                   // 0000000054D0: D2850007 0000A504
	v_add_u32_e32 v40, v6, v7                                  // 0000000054D8: 68500F06
	v_readlane_b32 s82, v3, 6                                  // 0000000054DC: D2890052 00010D03
	s_lshr_b32 s61, s82, 24                                    // 0000000054E4: 8F3D9852
	s_and_b32 s82, s82, 0xffffff                               // 0000000054E8: 8652FF52 00FFFFFF
	s_mul_i32 s82, s82, s71                                    // 0000000054F0: 92524752
	s_mul_i32 s61, s60, s61                                    // 0000000054F4: 923D3D3C
	s_add_u32 s82, s82, s61                                    // 0000000054F8: 80523D52
	v_mul_lo_u32 v6, v5, s82                                   // 0000000054FC: D2850006 0000A505
	v_readlane_b32 s82, v3, 7                                  // 000000005504: D2890052 00010F03
	s_lshr_b32 s61, s82, 24                                    // 00000000550C: 8F3D9852
	s_and_b32 s82, s82, 0xffffff                               // 000000005510: 8652FF52 00FFFFFF
	s_mul_i32 s82, s82, s71                                    // 000000005518: 92524752
	s_mul_i32 s61, s60, s61                                    // 00000000551C: 923D3D3C
	s_add_u32 s82, s82, s61                                    // 000000005520: 80523D52
	v_mul_lo_u32 v7, v4, s82                                   // 000000005524: D2850007 0000A504
	v_add_u32_e32 v41, v6, v7                                  // 00000000552C: 68520F06
	v_and_b32_e32 v4, 31, v0                                   // 000000005530: 2608009F
	v_lshrrev_b32_e32 v4, 1, v4                                // 000000005534: 20080881
	s_cmp_eq_u32 s88, 0                                        // 000000005538: BF068058
	s_cselect_b32 s61, 2, 4                                    // 00000000553C: 853D8482
	v_mul_lo_u32 v4, v4, s61                                   // 000000005540: D2850004 00007B04
	v_and_b32_e64 v5, v0, 1                                    // 000000005548: D1130005 00010300
	v_add_u32_e32 v4, v4, v5                                   // 000000005550: 68080B04
	v_lshlrev_b32_e32 v4, 2, v4                                // 000000005554: 24080882
	v_add_u32_e32 v38, v38, v4                                 // 000000005558: 684C0926
	v_add_u32_e32 v39, v39, v4                                 // 00000000555C: 684E0927
	v_add_u32_e32 v40, v40, v4                                 // 000000005560: 68500928
	v_add_u32_e32 v41, v41, v4                                 // 000000005564: 68520929
	s_waitcnt lgkmcnt(0)                                       // 000000005568: BF8CC07F
	s_barrier                                                  // 00000000556C: BF8A0000
	ds_read_b32 v44, v21                                       // 000000005570: D86C0000 2C000015
	ds_read_b32 v45, v21 offset:64                             // 000000005578: D86C0040 2D000015
	ds_read_b32 v46, v21 offset:2176                           // 000000005580: D86C0880 2E000015
	ds_read_b32 v47, v21 offset:2240                           // 000000005588: D86C08C0 2F000015
	s_waitcnt lgkmcnt(0)                                       // 000000005590: BF8CC07F
	s_mov_b32 s36, -1                                          // 000000005594: BEA400C1
	s_mov_b32 s37, -1                                          // 000000005598: BEA500C1
	v_mov_b32_e32 v7, 0                                        // 00000000559C: 7E0E0280
	s_or_b32 s9, s9, 0x40000                                   // 0000000055A0: 8709FF09 00040000
	s_mov_b64 exec, s[36:37]                                   // 0000000055A8: BEFE0124
	v_mov_b32_e32 v6, v38                                      // 0000000055AC: 7E0C0326
	s_mov_b64 s[60:61], 0                                      // 0000000055B0: BEBC0180
	v_readlane_b32 s82, v3, 0                                  // 0000000055B4: D2890052 00010103
	s_and_b32 s82, s82, 0xffffff                               // 0000000055BC: 8652FF52 00FFFFFF
	s_cmp_lt_u32 s82, s66                                      // 0000000055C4: BF0A4252
	s_cselect_b32 s20, s36, s60                                // 0000000055C8: 85143C24
	v_readlane_b32 s82, v3, 1                                  // 0000000055CC: D2890052 00010303
	s_and_b32 s82, s82, 0xffffff                               // 0000000055D4: 8652FF52 00FFFFFF
	s_cmp_lt_u32 s82, s66                                      // 0000000055DC: BF0A4252
	s_cselect_b32 s21, s36, s60                                // 0000000055E0: 85153C24
	s_mov_b64 exec, s[20:21]                                   // 0000000055E4: BEFE0114
	buffer_store_dword v44, v6, s[8:11], 0 offen               // 0000000055E8: E0701000 80022C06
	s_mov_b64 exec, s[36:37]                                   // 0000000055F0: BEFE0124
	v_mov_b32_e32 v6, v39                                      // 0000000055F4: 7E0C0327
	s_mov_b64 s[60:61], 0                                      // 0000000055F8: BEBC0180
	v_readlane_b32 s82, v3, 2                                  // 0000000055FC: D2890052 00010503
	s_and_b32 s82, s82, 0xffffff                               // 000000005604: 8652FF52 00FFFFFF
	s_cmp_lt_u32 s82, s66                                      // 00000000560C: BF0A4252
	s_cselect_b32 s20, s36, s60                                // 000000005610: 85143C24
	v_readlane_b32 s82, v3, 3                                  // 000000005614: D2890052 00010703
	s_and_b32 s82, s82, 0xffffff                               // 00000000561C: 8652FF52 00FFFFFF
	s_cmp_lt_u32 s82, s66                                      // 000000005624: BF0A4252
	s_cselect_b32 s21, s36, s60                                // 000000005628: 85153C24
	s_mov_b64 exec, s[20:21]                                   // 00000000562C: BEFE0114
	buffer_store_dword v45, v6, s[8:11], 0 offen               // 000000005630: E0701000 80022D06
	s_mov_b64 exec, s[36:37]                                   // 000000005638: BEFE0124
	v_mov_b32_e32 v6, v40                                      // 00000000563C: 7E0C0328
	s_mov_b64 s[60:61], 0                                      // 000000005640: BEBC0180
	v_readlane_b32 s82, v3, 4                                  // 000000005644: D2890052 00010903
	s_and_b32 s82, s82, 0xffffff                               // 00000000564C: 8652FF52 00FFFFFF
	s_cmp_lt_u32 s82, s66                                      // 000000005654: BF0A4252
	s_cselect_b32 s20, s36, s60                                // 000000005658: 85143C24
	v_readlane_b32 s82, v3, 5                                  // 00000000565C: D2890052 00010B03
	s_and_b32 s82, s82, 0xffffff                               // 000000005664: 8652FF52 00FFFFFF
	s_cmp_lt_u32 s82, s66                                      // 00000000566C: BF0A4252
	s_cselect_b32 s21, s36, s60                                // 000000005670: 85153C24
	s_mov_b64 exec, s[20:21]                                   // 000000005674: BEFE0114
	buffer_store_dword v46, v6, s[8:11], 0 offen               // 000000005678: E0701000 80022E06
	s_mov_b64 exec, s[36:37]                                   // 000000005680: BEFE0124
	v_mov_b32_e32 v6, v41                                      // 000000005684: 7E0C0329
	s_mov_b64 s[60:61], 0                                      // 000000005688: BEBC0180
	v_readlane_b32 s82, v3, 6                                  // 00000000568C: D2890052 00010D03
	s_and_b32 s82, s82, 0xffffff                               // 000000005694: 8652FF52 00FFFFFF
	s_cmp_lt_u32 s82, s66                                      // 00000000569C: BF0A4252
	s_cselect_b32 s20, s36, s60                                // 0000000056A0: 85143C24
	v_readlane_b32 s82, v3, 7                                  // 0000000056A4: D2890052 00010F03
	s_and_b32 s82, s82, 0xffffff                               // 0000000056AC: 8652FF52 00FFFFFF
	s_cmp_lt_u32 s82, s66                                      // 0000000056B4: BF0A4252
	s_cselect_b32 s21, s36, s60                                // 0000000056B8: 85153C24
	s_mov_b64 exec, s[20:21]                                   // 0000000056BC: BEFE0114
	buffer_store_dword v47, v6, s[8:11], 0 offen               // 0000000056C0: E0701000 80022F06
	s_mov_b64 exec, s[36:37]                                   // 0000000056C8: BEFE0124
	s_branch label_0D09                                        // 0000000056CC: BF8201D2

00000000000056d0 <label_0B37>:
	ds_write_b64 v20, v[44:45]                                 // 0000000056D0: D89A0000 00002C14
	ds_write_b64 v20, v[48:49] offset:2176                     // 0000000056D8: D89A0880 00003014
	v_lshrrev_b32_e32 v4, 5, v0                                // 0000000056E0: 20080085
	v_xor_b32_e32 v5, 1, v4                                    // 0000000056E4: 2A0A0881
	s_mul_i32 s60, s65, 2                                      // 0000000056E8: 923C8241
	s_cmp_eq_u32 s88, 0                                        // 0000000056EC: BF068058
	s_cselect_b32 s61, 1, 4                                    // 0000000056F0: 853D8481
	s_mul_i32 s60, s61, s60                                    // 0000000056F4: 923C3C3D
	v_readlane_b32 s82, v3, 0                                  // 0000000056F8: D2890052 00010103
	s_lshr_b32 s61, s82, 24                                    // 000000005700: 8F3D9852
	s_and_b32 s82, s82, 0xffffff                               // 000000005704: 8652FF52 00FFFFFF
	s_mul_i32 s82, s82, s71                                    // 00000000570C: 92524752
	s_mul_i32 s61, s60, s61                                    // 000000005710: 923D3D3C
	s_add_u32 s82, s82, s61                                    // 000000005714: 80523D52
	v_mul_lo_u32 v6, v5, s82                                   // 000000005718: D2850006 0000A505
	v_readlane_b32 s82, v3, 1                                  // 000000005720: D2890052 00010303
	s_lshr_b32 s61, s82, 24                                    // 000000005728: 8F3D9852
	s_and_b32 s82, s82, 0xffffff                               // 00000000572C: 8652FF52 00FFFFFF
	s_mul_i32 s82, s82, s71                                    // 000000005734: 92524752
	s_mul_i32 s61, s60, s61                                    // 000000005738: 923D3D3C
	s_add_u32 s82, s82, s61                                    // 00000000573C: 80523D52
	v_mul_lo_u32 v7, v4, s82                                   // 000000005740: D2850007 0000A504
	v_add_u32_e32 v38, v6, v7                                  // 000000005748: 684C0F06
	v_readlane_b32 s82, v3, 2                                  // 00000000574C: D2890052 00010503
	s_lshr_b32 s61, s82, 24                                    // 000000005754: 8F3D9852
	s_and_b32 s82, s82, 0xffffff                               // 000000005758: 8652FF52 00FFFFFF
	s_mul_i32 s82, s82, s71                                    // 000000005760: 92524752
	s_mul_i32 s61, s60, s61                                    // 000000005764: 923D3D3C
	s_add_u32 s82, s82, s61                                    // 000000005768: 80523D52
	v_mul_lo_u32 v6, v5, s82                                   // 00000000576C: D2850006 0000A505
	v_readlane_b32 s82, v3, 3                                  // 000000005774: D2890052 00010703
	s_lshr_b32 s61, s82, 24                                    // 00000000577C: 8F3D9852
	s_and_b32 s82, s82, 0xffffff                               // 000000005780: 8652FF52 00FFFFFF
	s_mul_i32 s82, s82, s71                                    // 000000005788: 92524752
	s_mul_i32 s61, s60, s61                                    // 00000000578C: 923D3D3C
	s_add_u32 s82, s82, s61                                    // 000000005790: 80523D52
	v_mul_lo_u32 v7, v4, s82                                   // 000000005794: D2850007 0000A504
	v_add_u32_e32 v39, v6, v7                                  // 00000000579C: 684E0F06
	v_readlane_b32 s82, v3, 4                                  // 0000000057A0: D2890052 00010903
	s_lshr_b32 s61, s82, 24                                    // 0000000057A8: 8F3D9852
	s_and_b32 s82, s82, 0xffffff                               // 0000000057AC: 8652FF52 00FFFFFF
	s_mul_i32 s82, s82, s71                                    // 0000000057B4: 92524752
	s_mul_i32 s61, s60, s61                                    // 0000000057B8: 923D3D3C
	s_add_u32 s82, s82, s61                                    // 0000000057BC: 80523D52
	v_mul_lo_u32 v6, v5, s82                                   // 0000000057C0: D2850006 0000A505
	v_readlane_b32 s82, v3, 5                                  // 0000000057C8: D2890052 00010B03
	s_lshr_b32 s61, s82, 24                                    // 0000000057D0: 8F3D9852
	s_and_b32 s82, s82, 0xffffff                               // 0000000057D4: 8652FF52 00FFFFFF
	s_mul_i32 s82, s82, s71                                    // 0000000057DC: 92524752
	s_mul_i32 s61, s60, s61                                    // 0000000057E0: 923D3D3C
	s_add_u32 s82, s82, s61                                    // 0000000057E4: 80523D52
	v_mul_lo_u32 v7, v4, s82                                   // 0000000057E8: D2850007 0000A504
	v_add_u32_e32 v40, v6, v7                                  // 0000000057F0: 68500F06
	v_readlane_b32 s82, v3, 6                                  // 0000000057F4: D2890052 00010D03
	s_lshr_b32 s61, s82, 24                                    // 0000000057FC: 8F3D9852
	s_and_b32 s82, s82, 0xffffff                               // 000000005800: 8652FF52 00FFFFFF
	s_mul_i32 s82, s82, s71                                    // 000000005808: 92524752
	s_mul_i32 s61, s60, s61                                    // 00000000580C: 923D3D3C
	s_add_u32 s82, s82, s61                                    // 000000005810: 80523D52
	v_mul_lo_u32 v6, v5, s82                                   // 000000005814: D2850006 0000A505
	v_readlane_b32 s82, v3, 7                                  // 00000000581C: D2890052 00010F03
	s_lshr_b32 s61, s82, 24                                    // 000000005824: 8F3D9852
	s_and_b32 s82, s82, 0xffffff                               // 000000005828: 8652FF52 00FFFFFF
	s_mul_i32 s82, s82, s71                                    // 000000005830: 92524752
	s_mul_i32 s61, s60, s61                                    // 000000005834: 923D3D3C
	s_add_u32 s82, s82, s61                                    // 000000005838: 80523D52
	v_mul_lo_u32 v7, v4, s82                                   // 00000000583C: D2850007 0000A504
	v_add_u32_e32 v41, v6, v7                                  // 000000005844: 68520F06
	v_and_b32_e32 v4, 31, v0                                   // 000000005848: 2608009F
	v_lshrrev_b32_e32 v4, 1, v4                                // 00000000584C: 20080881
	s_cmp_eq_u32 s88, 0                                        // 000000005850: BF068058
	s_cselect_b32 s61, 2, 4                                    // 000000005854: 853D8482
	v_mul_lo_u32 v4, v4, s61                                   // 000000005858: D2850004 00007B04
	v_and_b32_e64 v5, v0, 1                                    // 000000005860: D1130005 00010300
	v_add_u32_e32 v4, v4, v5                                   // 000000005868: 68080B04
	v_lshlrev_b32_e32 v4, 2, v4                                // 00000000586C: 24080882
	v_add_u32_e32 v38, v38, v4                                 // 000000005870: 684C0926
	v_add_u32_e32 v39, v39, v4                                 // 000000005874: 684E0927
	v_add_u32_e32 v40, v40, v4                                 // 000000005878: 68500928
	v_add_u32_e32 v41, v41, v4                                 // 00000000587C: 68520929
	s_waitcnt lgkmcnt(0)                                       // 000000005880: BF8CC07F
	s_barrier                                                  // 000000005884: BF8A0000
	ds_read_b32 v44, v21                                       // 000000005888: D86C0000 2C000015
	ds_read_b32 v45, v21 offset:64                             // 000000005890: D86C0040 2D000015
	ds_read_b32 v48, v21 offset:2176                           // 000000005898: D86C0880 30000015
	ds_read_b32 v49, v21 offset:2240                           // 0000000058A0: D86C08C0 31000015
	s_waitcnt lgkmcnt(0)                                       // 0000000058A8: BF8CC07F
	s_mov_b32 s36, -1                                          // 0000000058AC: BEA400C1
	s_mov_b32 s37, -1                                          // 0000000058B0: BEA500C1
	v_mov_b32_e32 v7, 0                                        // 0000000058B4: 7E0E0280
	s_mov_b64 exec, s[36:37]                                   // 0000000058B8: BEFE0124
	v_mov_b32_e32 v6, v38                                      // 0000000058BC: 7E0C0326
	s_mov_b64 s[60:61], 0                                      // 0000000058C0: BEBC0180
	v_readlane_b32 s82, v3, 0                                  // 0000000058C4: D2890052 00010103
	s_and_b32 s82, s82, 0xffffff                               // 0000000058CC: 8652FF52 00FFFFFF
	s_cmp_lt_u32 s82, s66                                      // 0000000058D4: BF0A4252
	s_cselect_b32 s20, s36, s60                                // 0000000058D8: 85143C24
	v_readlane_b32 s82, v3, 1                                  // 0000000058DC: D2890052 00010303
	s_and_b32 s82, s82, 0xffffff                               // 0000000058E4: 8652FF52 00FFFFFF
	s_cmp_lt_u32 s82, s66                                      // 0000000058EC: BF0A4252
	s_cselect_b32 s21, s36, s60                                // 0000000058F0: 85153C24
	s_mov_b64 exec, s[20:21]                                   // 0000000058F4: BEFE0114
	global_atomic_add_f32 v6, v44, s[8:9]                      // 0000000058F8: DD348000 00082C06
	s_mov_b64 exec, s[36:37]                                   // 000000005900: BEFE0124
	v_mov_b32_e32 v6, v39                                      // 000000005904: 7E0C0327
	s_mov_b64 s[60:61], 0                                      // 000000005908: BEBC0180
	v_readlane_b32 s82, v3, 2                                  // 00000000590C: D2890052 00010503
	s_and_b32 s82, s82, 0xffffff                               // 000000005914: 8652FF52 00FFFFFF
	s_cmp_lt_u32 s82, s66                                      // 00000000591C: BF0A4252
	s_cselect_b32 s20, s36, s60                                // 000000005920: 85143C24
	v_readlane_b32 s82, v3, 3                                  // 000000005924: D2890052 00010703
	s_and_b32 s82, s82, 0xffffff                               // 00000000592C: 8652FF52 00FFFFFF
	s_cmp_lt_u32 s82, s66                                      // 000000005934: BF0A4252
	s_cselect_b32 s21, s36, s60                                // 000000005938: 85153C24
	s_mov_b64 exec, s[20:21]                                   // 00000000593C: BEFE0114
	global_atomic_add_f32 v6, v45, s[8:9]                      // 000000005940: DD348000 00082D06
	s_mov_b64 exec, s[36:37]                                   // 000000005948: BEFE0124
	v_mov_b32_e32 v6, v40                                      // 00000000594C: 7E0C0328
	s_mov_b64 s[60:61], 0                                      // 000000005950: BEBC0180
	v_readlane_b32 s82, v3, 4                                  // 000000005954: D2890052 00010903
	s_and_b32 s82, s82, 0xffffff                               // 00000000595C: 8652FF52 00FFFFFF
	s_cmp_lt_u32 s82, s66                                      // 000000005964: BF0A4252
	s_cselect_b32 s20, s36, s60                                // 000000005968: 85143C24
	v_readlane_b32 s82, v3, 5                                  // 00000000596C: D2890052 00010B03
	s_and_b32 s82, s82, 0xffffff                               // 000000005974: 8652FF52 00FFFFFF
	s_cmp_lt_u32 s82, s66                                      // 00000000597C: BF0A4252
	s_cselect_b32 s21, s36, s60                                // 000000005980: 85153C24
	s_mov_b64 exec, s[20:21]                                   // 000000005984: BEFE0114
	global_atomic_add_f32 v6, v48, s[8:9]                      // 000000005988: DD348000 00083006
	s_mov_b64 exec, s[36:37]                                   // 000000005990: BEFE0124
	v_mov_b32_e32 v6, v41                                      // 000000005994: 7E0C0329
	s_mov_b64 s[60:61], 0                                      // 000000005998: BEBC0180
	v_readlane_b32 s82, v3, 6                                  // 00000000599C: D2890052 00010D03
	s_and_b32 s82, s82, 0xffffff                               // 0000000059A4: 8652FF52 00FFFFFF
	s_cmp_lt_u32 s82, s66                                      // 0000000059AC: BF0A4252
	s_cselect_b32 s20, s36, s60                                // 0000000059B0: 85143C24
	v_readlane_b32 s82, v3, 7                                  // 0000000059B4: D2890052 00010F03
	s_and_b32 s82, s82, 0xffffff                               // 0000000059BC: 8652FF52 00FFFFFF
	s_cmp_lt_u32 s82, s66                                      // 0000000059C4: BF0A4252
	s_cselect_b32 s21, s36, s60                                // 0000000059C8: 85153C24
	s_mov_b64 exec, s[20:21]                                   // 0000000059CC: BEFE0114
	global_atomic_add_f32 v6, v49, s[8:9]                      // 0000000059D0: DD348000 00083106
	s_mov_b64 exec, s[36:37]                                   // 0000000059D8: BEFE0124
	ds_write_b64 v20, v[46:47]                                 // 0000000059DC: D89A0000 00002E14
	ds_write_b64 v20, v[50:51] offset:2176                     // 0000000059E4: D89A0880 00003214
	s_waitcnt lgkmcnt(0)                                       // 0000000059EC: BF8CC07F
	s_barrier                                                  // 0000000059F0: BF8A0000
	ds_read_b32 v46, v21                                       // 0000000059F4: D86C0000 2E000015
	ds_read_b32 v47, v21 offset:64                             // 0000000059FC: D86C0040 2F000015
	ds_read_b32 v50, v21 offset:2176                           // 000000005A04: D86C0880 32000015
	ds_read_b32 v51, v21 offset:2240                           // 000000005A0C: D86C08C0 33000015
	s_waitcnt lgkmcnt(0)                                       // 000000005A14: BF8CC07F
	v_mov_b32_e32 v7, 0                                        // 000000005A18: 7E0E0280
	s_mov_b64 exec, s[36:37]                                   // 000000005A1C: BEFE0124
	v_mov_b32_e32 v6, v38                                      // 000000005A20: 7E0C0326
	s_mov_b64 s[60:61], 0                                      // 000000005A24: BEBC0180
	v_readlane_b32 s82, v3, 0                                  // 000000005A28: D2890052 00010103
	s_and_b32 s82, s82, 0xffffff                               // 000000005A30: 8652FF52 00FFFFFF
	s_cmp_lt_u32 s82, s66                                      // 000000005A38: BF0A4252
	s_cselect_b32 s20, s36, s60                                // 000000005A3C: 85143C24
	v_readlane_b32 s82, v3, 1                                  // 000000005A40: D2890052 00010303
	s_and_b32 s82, s82, 0xffffff                               // 000000005A48: 8652FF52 00FFFFFF
	s_cmp_lt_u32 s82, s66                                      // 000000005A50: BF0A4252
	s_cselect_b32 s21, s36, s60                                // 000000005A54: 85153C24
	s_mov_b64 exec, s[20:21]                                   // 000000005A58: BEFE0114
	global_atomic_add_f32 v6, v46, s[8:9] offset:8             // 000000005A5C: DD348008 00082E06
	s_mov_b64 exec, s[36:37]                                   // 000000005A64: BEFE0124
	v_mov_b32_e32 v6, v39                                      // 000000005A68: 7E0C0327
	s_mov_b64 s[60:61], 0                                      // 000000005A6C: BEBC0180
	v_readlane_b32 s82, v3, 2                                  // 000000005A70: D2890052 00010503
	s_and_b32 s82, s82, 0xffffff                               // 000000005A78: 8652FF52 00FFFFFF
	s_cmp_lt_u32 s82, s66                                      // 000000005A80: BF0A4252
	s_cselect_b32 s20, s36, s60                                // 000000005A84: 85143C24
	v_readlane_b32 s82, v3, 3                                  // 000000005A88: D2890052 00010703
	s_and_b32 s82, s82, 0xffffff                               // 000000005A90: 8652FF52 00FFFFFF
	s_cmp_lt_u32 s82, s66                                      // 000000005A98: BF0A4252
	s_cselect_b32 s21, s36, s60                                // 000000005A9C: 85153C24
	s_mov_b64 exec, s[20:21]                                   // 000000005AA0: BEFE0114
	global_atomic_add_f32 v6, v47, s[8:9] offset:8             // 000000005AA4: DD348008 00082F06
	s_mov_b64 exec, s[36:37]                                   // 000000005AAC: BEFE0124
	v_mov_b32_e32 v6, v40                                      // 000000005AB0: 7E0C0328
	s_mov_b64 s[60:61], 0                                      // 000000005AB4: BEBC0180
	v_readlane_b32 s82, v3, 4                                  // 000000005AB8: D2890052 00010903
	s_and_b32 s82, s82, 0xffffff                               // 000000005AC0: 8652FF52 00FFFFFF
	s_cmp_lt_u32 s82, s66                                      // 000000005AC8: BF0A4252
	s_cselect_b32 s20, s36, s60                                // 000000005ACC: 85143C24
	v_readlane_b32 s82, v3, 5                                  // 000000005AD0: D2890052 00010B03
	s_and_b32 s82, s82, 0xffffff                               // 000000005AD8: 8652FF52 00FFFFFF
	s_cmp_lt_u32 s82, s66                                      // 000000005AE0: BF0A4252
	s_cselect_b32 s21, s36, s60                                // 000000005AE4: 85153C24
	s_mov_b64 exec, s[20:21]                                   // 000000005AE8: BEFE0114
	global_atomic_add_f32 v6, v50, s[8:9] offset:8             // 000000005AEC: DD348008 00083206
	s_mov_b64 exec, s[36:37]                                   // 000000005AF4: BEFE0124
	v_mov_b32_e32 v6, v41                                      // 000000005AF8: 7E0C0329
	s_mov_b64 s[60:61], 0                                      // 000000005AFC: BEBC0180
	v_readlane_b32 s82, v3, 6                                  // 000000005B00: D2890052 00010D03
	s_and_b32 s82, s82, 0xffffff                               // 000000005B08: 8652FF52 00FFFFFF
	s_cmp_lt_u32 s82, s66                                      // 000000005B10: BF0A4252
	s_cselect_b32 s20, s36, s60                                // 000000005B14: 85143C24
	v_readlane_b32 s82, v3, 7                                  // 000000005B18: D2890052 00010F03
	s_and_b32 s82, s82, 0xffffff                               // 000000005B20: 8652FF52 00FFFFFF
	s_cmp_lt_u32 s82, s66                                      // 000000005B28: BF0A4252
	s_cselect_b32 s21, s36, s60                                // 000000005B2C: 85153C24
	s_mov_b64 exec, s[20:21]                                   // 000000005B30: BEFE0114
	global_atomic_add_f32 v6, v51, s[8:9] offset:8             // 000000005B34: DD348008 00083306
	s_mov_b64 exec, s[36:37]                                   // 000000005B3C: BEFE0124
	ds_write_b64 v20, v[52:53]                                 // 000000005B40: D89A0000 00003414
	ds_write_b64 v20, v[56:57] offset:2176                     // 000000005B48: D89A0880 00003814
	s_waitcnt lgkmcnt(0)                                       // 000000005B50: BF8CC07F
	s_barrier                                                  // 000000005B54: BF8A0000
	ds_read_b32 v52, v21                                       // 000000005B58: D86C0000 34000015
	ds_read_b32 v53, v21 offset:64                             // 000000005B60: D86C0040 35000015
	ds_read_b32 v56, v21 offset:2176                           // 000000005B68: D86C0880 38000015
	ds_read_b32 v57, v21 offset:2240                           // 000000005B70: D86C08C0 39000015
	s_mul_i32 s60, s65, 4                                      // 000000005B78: 923C8441
	s_add_u32 s8, s60, s8                                      // 000000005B7C: 8008083C
	s_addc_u32 s9, 0, s9                                       // 000000005B80: 82090980
	s_waitcnt lgkmcnt(0)                                       // 000000005B84: BF8CC07F
	v_mov_b32_e32 v7, 0                                        // 000000005B88: 7E0E0280
	s_mov_b64 exec, s[36:37]                                   // 000000005B8C: BEFE0124
	v_mov_b32_e32 v6, v38                                      // 000000005B90: 7E0C0326
	s_mov_b64 s[60:61], 0                                      // 000000005B94: BEBC0180
	v_readlane_b32 s82, v3, 0                                  // 000000005B98: D2890052 00010103
	s_and_b32 s82, s82, 0xffffff                               // 000000005BA0: 8652FF52 00FFFFFF
	s_cmp_lt_u32 s82, s66                                      // 000000005BA8: BF0A4252
	s_cselect_b32 s20, s36, s60                                // 000000005BAC: 85143C24
	v_readlane_b32 s82, v3, 1                                  // 000000005BB0: D2890052 00010303
	s_and_b32 s82, s82, 0xffffff                               // 000000005BB8: 8652FF52 00FFFFFF
	s_cmp_lt_u32 s82, s66                                      // 000000005BC0: BF0A4252
	s_cselect_b32 s21, s36, s60                                // 000000005BC4: 85153C24
	s_mov_b64 exec, s[20:21]                                   // 000000005BC8: BEFE0114
	global_atomic_add_f32 v6, v52, s[8:9]                      // 000000005BCC: DD348000 00083406
	s_mov_b64 exec, s[36:37]                                   // 000000005BD4: BEFE0124
	v_mov_b32_e32 v6, v39                                      // 000000005BD8: 7E0C0327
	s_mov_b64 s[60:61], 0                                      // 000000005BDC: BEBC0180
	v_readlane_b32 s82, v3, 2                                  // 000000005BE0: D2890052 00010503
	s_and_b32 s82, s82, 0xffffff                               // 000000005BE8: 8652FF52 00FFFFFF
	s_cmp_lt_u32 s82, s66                                      // 000000005BF0: BF0A4252
	s_cselect_b32 s20, s36, s60                                // 000000005BF4: 85143C24
	v_readlane_b32 s82, v3, 3                                  // 000000005BF8: D2890052 00010703
	s_and_b32 s82, s82, 0xffffff                               // 000000005C00: 8652FF52 00FFFFFF
	s_cmp_lt_u32 s82, s66                                      // 000000005C08: BF0A4252
	s_cselect_b32 s21, s36, s60                                // 000000005C0C: 85153C24
	s_mov_b64 exec, s[20:21]                                   // 000000005C10: BEFE0114
	global_atomic_add_f32 v6, v53, s[8:9]                      // 000000005C14: DD348000 00083506
	s_mov_b64 exec, s[36:37]                                   // 000000005C1C: BEFE0124
	v_mov_b32_e32 v6, v40                                      // 000000005C20: 7E0C0328
	s_mov_b64 s[60:61], 0                                      // 000000005C24: BEBC0180
	v_readlane_b32 s82, v3, 4                                  // 000000005C28: D2890052 00010903
	s_and_b32 s82, s82, 0xffffff                               // 000000005C30: 8652FF52 00FFFFFF
	s_cmp_lt_u32 s82, s66                                      // 000000005C38: BF0A4252
	s_cselect_b32 s20, s36, s60                                // 000000005C3C: 85143C24
	v_readlane_b32 s82, v3, 5                                  // 000000005C40: D2890052 00010B03
	s_and_b32 s82, s82, 0xffffff                               // 000000005C48: 8652FF52 00FFFFFF
	s_cmp_lt_u32 s82, s66                                      // 000000005C50: BF0A4252
	s_cselect_b32 s21, s36, s60                                // 000000005C54: 85153C24
	s_mov_b64 exec, s[20:21]                                   // 000000005C58: BEFE0114
	global_atomic_add_f32 v6, v56, s[8:9]                      // 000000005C5C: DD348000 00083806
	s_mov_b64 exec, s[36:37]                                   // 000000005C64: BEFE0124
	v_mov_b32_e32 v6, v41                                      // 000000005C68: 7E0C0329
	s_mov_b64 s[60:61], 0                                      // 000000005C6C: BEBC0180
	v_readlane_b32 s82, v3, 6                                  // 000000005C70: D2890052 00010D03
	s_and_b32 s82, s82, 0xffffff                               // 000000005C78: 8652FF52 00FFFFFF
	s_cmp_lt_u32 s82, s66                                      // 000000005C80: BF0A4252
	s_cselect_b32 s20, s36, s60                                // 000000005C84: 85143C24
	v_readlane_b32 s82, v3, 7                                  // 000000005C88: D2890052 00010F03
	s_and_b32 s82, s82, 0xffffff                               // 000000005C90: 8652FF52 00FFFFFF
	s_cmp_lt_u32 s82, s66                                      // 000000005C98: BF0A4252
	s_cselect_b32 s21, s36, s60                                // 000000005C9C: 85153C24
	s_mov_b64 exec, s[20:21]                                   // 000000005CA0: BEFE0114
	global_atomic_add_f32 v6, v57, s[8:9]                      // 000000005CA4: DD348000 00083906
	s_mov_b64 exec, s[36:37]                                   // 000000005CAC: BEFE0124
	ds_write_b64 v20, v[54:55]                                 // 000000005CB0: D89A0000 00003614
	ds_write_b64 v20, v[58:59] offset:2176                     // 000000005CB8: D89A0880 00003A14
	s_waitcnt lgkmcnt(0)                                       // 000000005CC0: BF8CC07F
	s_barrier                                                  // 000000005CC4: BF8A0000
	ds_read_b32 v54, v21                                       // 000000005CC8: D86C0000 36000015
	ds_read_b32 v55, v21 offset:64                             // 000000005CD0: D86C0040 37000015
	ds_read_b32 v58, v21 offset:2176                           // 000000005CD8: D86C0880 3A000015
	ds_read_b32 v59, v21 offset:2240                           // 000000005CE0: D86C08C0 3B000015
	s_waitcnt lgkmcnt(0)                                       // 000000005CE8: BF8CC07F
	v_mov_b32_e32 v7, 0                                        // 000000005CEC: 7E0E0280
	s_mov_b64 exec, s[36:37]                                   // 000000005CF0: BEFE0124
	v_mov_b32_e32 v6, v38                                      // 000000005CF4: 7E0C0326
	s_mov_b64 s[60:61], 0                                      // 000000005CF8: BEBC0180
	v_readlane_b32 s82, v3, 0                                  // 000000005CFC: D2890052 00010103
	s_and_b32 s82, s82, 0xffffff                               // 000000005D04: 8652FF52 00FFFFFF
	s_cmp_lt_u32 s82, s66                                      // 000000005D0C: BF0A4252
	s_cselect_b32 s20, s36, s60                                // 000000005D10: 85143C24
	v_readlane_b32 s82, v3, 1                                  // 000000005D14: D2890052 00010303
	s_and_b32 s82, s82, 0xffffff                               // 000000005D1C: 8652FF52 00FFFFFF
	s_cmp_lt_u32 s82, s66                                      // 000000005D24: BF0A4252
	s_cselect_b32 s21, s36, s60                                // 000000005D28: 85153C24
	s_mov_b64 exec, s[20:21]                                   // 000000005D2C: BEFE0114
	global_atomic_add_f32 v6, v54, s[8:9] offset:8             // 000000005D30: DD348008 00083606
	s_mov_b64 exec, s[36:37]                                   // 000000005D38: BEFE0124
	v_mov_b32_e32 v6, v39                                      // 000000005D3C: 7E0C0327
	s_mov_b64 s[60:61], 0                                      // 000000005D40: BEBC0180
	v_readlane_b32 s82, v3, 2                                  // 000000005D44: D2890052 00010503
	s_and_b32 s82, s82, 0xffffff                               // 000000005D4C: 8652FF52 00FFFFFF
	s_cmp_lt_u32 s82, s66                                      // 000000005D54: BF0A4252
	s_cselect_b32 s20, s36, s60                                // 000000005D58: 85143C24
	v_readlane_b32 s82, v3, 3                                  // 000000005D5C: D2890052 00010703
	s_and_b32 s82, s82, 0xffffff                               // 000000005D64: 8652FF52 00FFFFFF
	s_cmp_lt_u32 s82, s66                                      // 000000005D6C: BF0A4252
	s_cselect_b32 s21, s36, s60                                // 000000005D70: 85153C24
	s_mov_b64 exec, s[20:21]                                   // 000000005D74: BEFE0114
	global_atomic_add_f32 v6, v55, s[8:9] offset:8             // 000000005D78: DD348008 00083706
	s_mov_b64 exec, s[36:37]                                   // 000000005D80: BEFE0124
	v_mov_b32_e32 v6, v40                                      // 000000005D84: 7E0C0328
	s_mov_b64 s[60:61], 0                                      // 000000005D88: BEBC0180
	v_readlane_b32 s82, v3, 4                                  // 000000005D8C: D2890052 00010903
	s_and_b32 s82, s82, 0xffffff                               // 000000005D94: 8652FF52 00FFFFFF
	s_cmp_lt_u32 s82, s66                                      // 000000005D9C: BF0A4252
	s_cselect_b32 s20, s36, s60                                // 000000005DA0: 85143C24
	v_readlane_b32 s82, v3, 5                                  // 000000005DA4: D2890052 00010B03
	s_and_b32 s82, s82, 0xffffff                               // 000000005DAC: 8652FF52 00FFFFFF
	s_cmp_lt_u32 s82, s66                                      // 000000005DB4: BF0A4252
	s_cselect_b32 s21, s36, s60                                // 000000005DB8: 85153C24
	s_mov_b64 exec, s[20:21]                                   // 000000005DBC: BEFE0114
	global_atomic_add_f32 v6, v58, s[8:9] offset:8             // 000000005DC0: DD348008 00083A06
	s_mov_b64 exec, s[36:37]                                   // 000000005DC8: BEFE0124
	v_mov_b32_e32 v6, v41                                      // 000000005DCC: 7E0C0329
	s_mov_b64 s[60:61], 0                                      // 000000005DD0: BEBC0180
	v_readlane_b32 s82, v3, 6                                  // 000000005DD4: D2890052 00010D03
	s_and_b32 s82, s82, 0xffffff                               // 000000005DDC: 8652FF52 00FFFFFF
	s_cmp_lt_u32 s82, s66                                      // 000000005DE4: BF0A4252
	s_cselect_b32 s20, s36, s60                                // 000000005DE8: 85143C24
	v_readlane_b32 s82, v3, 7                                  // 000000005DEC: D2890052 00010F03
	s_and_b32 s82, s82, 0xffffff                               // 000000005DF4: 8652FF52 00FFFFFF
	s_cmp_lt_u32 s82, s66                                      // 000000005DFC: BF0A4252
	s_cselect_b32 s21, s36, s60                                // 000000005E00: 85153C24
	s_mov_b64 exec, s[20:21]                                   // 000000005E04: BEFE0114
	global_atomic_add_f32 v6, v59, s[8:9] offset:8             // 000000005E08: DD348008 00083B06
	s_mov_b64 exec, s[36:37]                                   // 000000005E10: BEFE0124
	s_branch label_0D09                                        // 000000005E14: BF820000

0000000000005e18 <label_0D09>:
	s_waitcnt vmcnt(0) expcnt(0) lgkmcnt(0)                    // 000000005E18: BF8C0000
	s_endpgm                                                   // 000000005E1C: BF810000
